;; amdgpu-corpus repo=llvm/llvm-project kind=harvested arch=n/a opt=n/a
// NOTE: Assertions have been autogenerated by utils/update_mc_test_checks.py UTC_ARGS: --version 5
// RUN: llvm-mc -triple=amdgcn -mcpu=gfx1250 -mattr=-real-true16 -show-encoding < %s | FileCheck --check-prefix=GFX1250 %s

v_bitop3_b32 v5, v1, v2, s3
// GFX1250: v_bitop3_b32 v5, v1, v2, s3             ; encoding: [0x05,0x00,0x34,0xd6,0x01,0x05,0x0e,0x00]

v_bitop3_b32 v5, v1, v2, s3 bitop3:161
// GFX1250: v_bitop3_b32 v5, v1, v2, s3 bitop3:0xa1 ; encoding: [0x05,0x04,0x34,0xd6,0x01,0x05,0x0e,0x30]

v_bitop3_b32 v5, v255, s2, s105 bitop3:0x27
// GFX1250: v_bitop3_b32 v5, v255, s2, s105 bitop3:0x27 ; encoding: [0x05,0x04,0x34,0xd6,0xff,0x05,0xa4,0xe1]

v_bitop3_b32 v5, s1, v255, exec_hi bitop3:100
// GFX1250: v_bitop3_b32 v5, s1, v255, exec_hi bitop3:0x64 ; encoding: [0x05,0x04,0x34,0xd6,0x01,0xfe,0xff,0x89]

v_bitop3_b32 v5, s105, s105, exec_lo bitop3:0
// GFX1250: v_bitop3_b32 v5, s105, s105, exec_lo    ; encoding: [0x05,0x00,0x34,0xd6,0x69,0xd2,0xf8,0x01]

v_bitop3_b32 v5, vcc_lo, ttmp15, v3 bitop3:0x15
// GFX1250: v_bitop3_b32 v5, vcc_lo, ttmp15, v3 bitop3:0x15 ; encoding: [0x05,0x02,0x34,0xd6,0x6a,0xf6,0x0c,0xa4]

v_bitop3_b32 v5, vcc_hi, 0xaf123456, v255 bitop3:63
// GFX1250: v_bitop3_b32 v5, vcc_hi, 0xaf123456, v255 bitop3:0x3f ; encoding: [0x05,0x07,0x34,0xd6,0x6b,0xfe,0xfd,0xe7,0x56,0x34,0x12,0xaf]

v_bitop3_b32 v5, ttmp15, src_scc, ttmp15 bitop3:0x24
// GFX1250: v_bitop3_b32 v5, ttmp15, src_scc, ttmp15 bitop3:0x24 ; encoding: [0x05,0x04,0x34,0xd6,0x7b,0xfa,0xed,0x81]

v_bitop3_b32 v5, m0, 0.5, m0 bitop3:5
// GFX1250: v_bitop3_b32 v5, m0, 0.5, m0 bitop3:5   ; encoding: [0x05,0x00,0x34,0xd6,0x7d,0xe0,0xf5,0xa1]

v_bitop3_b32 v5, exec_lo, -1, vcc_hi bitop3:6
// GFX1250: v_bitop3_b32 v5, exec_lo, -1, vcc_hi bitop3:6 ; encoding: [0x05,0x00,0x34,0xd6,0x7e,0x82,0xad,0xc1]

v_bitop3_b32 v5, exec_hi, null, vcc_lo bitop3:77
// GFX1250: v_bitop3_b32 v5, exec_hi, null, vcc_lo bitop3:0x4d ; encoding: [0x05,0x01,0x34,0xd6,0x7f,0xf8,0xa8,0xa9]

v_bitop3_b32 v5, null, exec_lo, 0xaf123456 bitop3:88
// GFX1250: v_bitop3_b32 v5, null, exec_lo, 0xaf123456 bitop3:0x58 ; encoding: [0x05,0x03,0x34,0xd6,0x7c,0xfc,0xfc,0x0b,0x56,0x34,0x12,0xaf]

v_bitop3_b32 v5, -1, exec_hi, src_scc bitop3:99
// GFX1250: v_bitop3_b32 v5, -1, exec_hi, src_scc bitop3:0x63 ; encoding: [0x05,0x04,0x34,0xd6,0xc1,0xfe,0xf4,0x6b]

v_bitop3_b32 v5, 0.5, m0, 0.5 bitop3:101
// GFX1250: v_bitop3_b32 v5, 0.5, m0, 0.5 bitop3:0x65 ; encoding: [0x05,0x04,0x34,0xd6,0xf0,0xfa,0xc0,0xab]

v_bitop3_b32 v5, src_scc, vcc_lo, -1 bitop3:102
// GFX1250: v_bitop3_b32 v5, src_scc, vcc_lo, -1 bitop3:0x66 ; encoding: [0x05,0x04,0x34,0xd6,0xfd,0xd4,0x04,0xcb]

v_bitop3_b32 v255, 0xaf123456, vcc_hi, null bitop3:103
// GFX1250: v_bitop3_b32 v255, 0xaf123456, vcc_hi, null bitop3:0x67 ; encoding: [0xff,0x04,0x34,0xd6,0xff,0xd6,0xf0,0xe9,0x56,0x34,0x12,0xaf]

v_bitop3_b16 v5, v1, v2, s3
// GFX1250: v_bitop3_b16 v5, v1, v2, s3             ; encoding: [0x05,0x00,0x33,0xd6,0x01,0x05,0x0e,0x00]

v_bitop3_b16 v5, v1, v2, s3 bitop3:161
// GFX1250: v_bitop3_b16 v5, v1, v2, s3 bitop3:0xa1 ; encoding: [0x05,0x04,0x33,0xd6,0x01,0x05,0x0e,0x30]

v_bitop3_b16 v5, v255, s2, s105 bitop3:0x27
// GFX1250: v_bitop3_b16 v5, v255, s2, s105 bitop3:0x27 ; encoding: [0x05,0x04,0x33,0xd6,0xff,0x05,0xa4,0xe1]

v_bitop3_b16 v5, s1, v255, exec_hi bitop3:100
// GFX1250: v_bitop3_b16 v5, s1, v255, exec_hi bitop3:0x64 ; encoding: [0x05,0x04,0x33,0xd6,0x01,0xfe,0xff,0x89]

v_bitop3_b16 v5, s105, s105, exec_lo bitop3:0
// GFX1250: v_bitop3_b16 v5, s105, s105, exec_lo    ; encoding: [0x05,0x00,0x33,0xd6,0x69,0xd2,0xf8,0x01]

v_bitop3_b16 v5, vcc_lo, ttmp15, v3 bitop3:0x15
// GFX1250: v_bitop3_b16 v5, vcc_lo, ttmp15, v3 bitop3:0x15 ; encoding: [0x05,0x02,0x33,0xd6,0x6a,0xf6,0x0c,0xa4]

v_bitop3_b16 v5, vcc_hi, 0xfe0b, v255 bitop3:63
// GFX1250: v_bitop3_b16 v5, vcc_hi, 0xfe0b, v255 bitop3:0x3f ; encoding: [0x05,0x07,0x33,0xd6,0x6b,0xfe,0xfd,0xe7,0x0b,0xfe,0x00,0x00]

v_bitop3_b16 v5, ttmp15, src_scc, ttmp15 bitop3:0x24
// GFX1250: v_bitop3_b16 v5, ttmp15, src_scc, ttmp15 bitop3:0x24 ; encoding: [0x05,0x04,0x33,0xd6,0x7b,0xfa,0xed,0x81]

v_bitop3_b16 v5, m0, 0.5, m0 bitop3:5
// GFX1250: v_bitop3_b16 v5, m0, 0.5, m0 bitop3:5   ; encoding: [0x05,0x00,0x33,0xd6,0x7d,0xe0,0xf5,0xa1]

v_bitop3_b16 v5, exec_lo, -1, vcc_hi bitop3:6
// GFX1250: v_bitop3_b16 v5, exec_lo, -1, vcc_hi bitop3:6 ; encoding: [0x05,0x00,0x33,0xd6,0x7e,0x82,0xad,0xc1]

v_bitop3_b16 v5, exec_hi, null, vcc_lo op_sel:[1,1,1,1]
// GFX1250: v_bitop3_b16 v5, exec_hi, null, vcc_lo op_sel:[1,1,1,1] ; encoding: [0x05,0x78,0x33,0xd6,0x7f,0xf8,0xa8,0x01]

v_bitop3_b16 v5, exec_hi, null, vcc_lo bitop3:0x77 op_sel:[1,1,1,1]
// GFX1250: v_bitop3_b16 v5, exec_hi, null, vcc_lo bitop3:0x77 op_sel:[1,1,1,1] ; encoding: [0x05,0x7e,0x33,0xd6,0x7f,0xf8,0xa8,0xe9]

v_bitop3_b16 v5, null, exec_lo, 0xfe0b bitop3:0x88 op_sel:[0,0,0,0]
// GFX1250: v_bitop3_b16 v5, null, exec_lo, 0xfe0b bitop3:0x88 ; encoding: [0x05,0x01,0x33,0xd6,0x7c,0xfc,0xfc,0x13,0x0b,0xfe,0x00,0x00]

v_bitop3_b16 v5, -1, exec_hi, src_scc bitop3:99 op_sel:[1,0,0,0]
// GFX1250: v_bitop3_b16 v5, -1, exec_hi, src_scc bitop3:0x63 op_sel:[1,0,0,0] ; encoding: [0x05,0x0c,0x33,0xd6,0xc1,0xfe,0xf4,0x6b]

v_bitop3_b16 v5, 0.5, m0, 0.5 bitop3:101 op_sel:[0,1,0,0]
// GFX1250: v_bitop3_b16 v5, 0.5, m0, 0.5 bitop3:0x65 op_sel:[0,1,0,0] ; encoding: [0x05,0x14,0x33,0xd6,0xf0,0xfa,0xc0,0xab]

v_bitop3_b16 v5, src_scc, vcc_lo, -1 bitop3:102 op_sel:[0,0,1,0]
// GFX1250: v_bitop3_b16 v5, src_scc, vcc_lo, -1 bitop3:0x66 op_sel:[0,0,1,0] ; encoding: [0x05,0x24,0x33,0xd6,0xfd,0xd4,0x04,0xcb]

v_bitop3_b16 v255, 0xfe0b, vcc_hi, null bitop3:103 op_sel:[0,0,0,1]
// GFX1250: v_bitop3_b16 v255, 0xfe0b, vcc_hi, null bitop3:0x67 op_sel:[0,0,0,1] ; encoding: [0xff,0x44,0x33,0xd6,0xff,0xd6,0xf0,0xe9,0x0b,0xfe,0x00,0x00]

v_bitop3_b16 v1, v2, v3, v4 bitop3:103 op_sel:[1,1,1,1]
// GFX1250: v_bitop3_b16 v1, v2, v3, v4 bitop3:0x67 op_sel:[1,1,1,1] ; encoding: [0x01,0x7c,0x33,0xd6,0x02,0x07,0x12,0xec]

v_lshl_add_u64 v[2:3], s[4:5], v7, v[8:9]
// GFX1250: v_lshl_add_u64 v[2:3], s[4:5], v7, v[8:9] ; encoding: [0x02,0x00,0x52,0xd6,0x04,0x0e,0x22,0x04]

v_lshl_add_u64 v[2:3], v[4:5], 0, 1
// GFX1250: v_lshl_add_u64 v[2:3], v[4:5], 0, 1     ; encoding: [0x02,0x00,0x52,0xd6,0x04,0x01,0x05,0x02]

v_lshl_add_u64 v[2:3], v[4:5], 3, s[2:3]
// GFX1250: v_lshl_add_u64 v[2:3], v[4:5], 3, s[2:3] ; encoding: [0x02,0x00,0x52,0xd6,0x04,0x07,0x09,0x00]

v_lshl_add_u64 v[2:3], s[4:5], 4, v[2:3]
// GFX1250: v_lshl_add_u64 v[2:3], s[4:5], 4, v[2:3] ; encoding: [0x02,0x00,0x52,0xd6,0x04,0x08,0x09,0x04]

v_lshl_add_u64 v[2:3], v[4:5], v7, 12345
// GFX1250: v_lshl_add_u64 v[2:3], v[4:5], v7, 0x3039 ; encoding: [0x02,0x00,0x52,0xd6,0x04,0x0f,0xfe,0x03,0x39,0x30,0x00,0x00]

v_mad_u32 v2, s4, v7, v8
// GFX1250: v_mad_u32 v2, s4, v7, v8                ; encoding: [0x02,0x00,0x35,0xd6,0x04,0x0e,0x22,0x04]

v_mad_u32 v2, v4, 0, 1
// GFX1250: v_mad_u32 v2, v4, 0, 1                  ; encoding: [0x02,0x00,0x35,0xd6,0x04,0x01,0x05,0x02]

v_mad_u32 v2, v4, 3, s2
// GFX1250: v_mad_u32 v2, v4, 3, s2                 ; encoding: [0x02,0x00,0x35,0xd6,0x04,0x07,0x09,0x00]

v_mad_u32 v2, s4, 4, v2
// GFX1250: v_mad_u32 v2, s4, 4, v2                 ; encoding: [0x02,0x00,0x35,0xd6,0x04,0x08,0x09,0x04]

v_mad_u32 v2, v4, v7, 12345
// GFX1250: v_mad_u32 v2, v4, v7, 0x3039            ; encoding: [0x02,0x00,0x35,0xd6,0x04,0x0f,0xfe,0x03,0x39,0x30,0x00,0x00]

v_max_i64 v[2:3], s[4:5], v[6:7]
// GFX1250: v_max_i64 v[2:3], s[4:5], v[6:7]        ; encoding: [0x02,0x00,0x1b,0xd7,0x04,0x0c,0x02,0x02]

v_max_i64 v[2:3], v[4:5], 1
// GFX1250: v_max_i64 v[2:3], v[4:5], 1             ; encoding: [0x02,0x00,0x1b,0xd7,0x04,0x03,0x01,0x02]

v_max_i64 v[2:3], v[4:5], s[2:3]
// GFX1250: v_max_i64 v[2:3], v[4:5], s[2:3]        ; encoding: [0x02,0x00,0x1b,0xd7,0x04,0x05,0x00,0x02]

v_max_i64 v[2:3], v[4:5], 12345
// GFX1250: v_max_i64 v[2:3], v[4:5], 0x3039        ; encoding: [0x02,0x00,0x1b,0xd7,0x04,0xff,0x01,0x02,0x39,0x30,0x00,0x00]

v_max_u64 v[2:3], s[4:5], v[6:7]
// GFX1250: v_max_u64 v[2:3], s[4:5], v[6:7]        ; encoding: [0x02,0x00,0x19,0xd7,0x04,0x0c,0x02,0x02]

v_max_u64 v[2:3], v[4:5], 1
// GFX1250: v_max_u64 v[2:3], v[4:5], 1             ; encoding: [0x02,0x00,0x19,0xd7,0x04,0x03,0x01,0x02]

v_max_u64 v[2:3], v[4:5], s[2:3]
// GFX1250: v_max_u64 v[2:3], v[4:5], s[2:3]        ; encoding: [0x02,0x00,0x19,0xd7,0x04,0x05,0x00,0x02]

v_max_u64 v[2:3], v[4:5], 12345
// GFX1250: v_max_u64 v[2:3], v[4:5], 0x3039        ; encoding: [0x02,0x00,0x19,0xd7,0x04,0xff,0x01,0x02,0x39,0x30,0x00,0x00]

v_min_i64 v[2:3], s[4:5], v[6:7]
// GFX1250: v_min_i64 v[2:3], s[4:5], v[6:7]        ; encoding: [0x02,0x00,0x1a,0xd7,0x04,0x0c,0x02,0x02]

v_min_i64 v[2:3], v[4:5], 1
// GFX1250: v_min_i64 v[2:3], v[4:5], 1             ; encoding: [0x02,0x00,0x1a,0xd7,0x04,0x03,0x01,0x02]

v_min_i64 v[2:3], v[4:5], s[2:3]
// GFX1250: v_min_i64 v[2:3], v[4:5], s[2:3]        ; encoding: [0x02,0x00,0x1a,0xd7,0x04,0x05,0x00,0x02]

v_min_i64 v[2:3], v[4:5], 12345
// GFX1250: v_min_i64 v[2:3], v[4:5], 0x3039        ; encoding: [0x02,0x00,0x1a,0xd7,0x04,0xff,0x01,0x02,0x39,0x30,0x00,0x00]

v_min_u64 v[2:3], s[4:5], v[6:7]
// GFX1250: v_min_u64 v[2:3], s[4:5], v[6:7]        ; encoding: [0x02,0x00,0x18,0xd7,0x04,0x0c,0x02,0x02]

v_min_u64 v[2:3], v[4:5], 1
// GFX1250: v_min_u64 v[2:3], v[4:5], 1             ; encoding: [0x02,0x00,0x18,0xd7,0x04,0x03,0x01,0x02]

v_min_u64 v[2:3], v[4:5], s[2:3]
// GFX1250: v_min_u64 v[2:3], v[4:5], s[2:3]        ; encoding: [0x02,0x00,0x18,0xd7,0x04,0x05,0x00,0x02]

v_min_u64 v[2:3], v[4:5], 12345
// GFX1250: v_min_u64 v[2:3], v[4:5], 0x3039        ; encoding: [0x02,0x00,0x18,0xd7,0x04,0xff,0x01,0x02,0x39,0x30,0x00,0x00]

v_mad_nc_u64_u32 v[2:3], s4, v7, v[8:9]
// GFX1250: v_mad_nc_u64_u32 v[2:3], s4, v7, v[8:9] ; encoding: [0x02,0x00,0xfa,0xd6,0x04,0x0e,0x22,0x04]

v_mad_nc_u64_u32 v[2:3], v4, 0, 1
// GFX1250: v_mad_nc_u64_u32 v[2:3], v4, 0, 1       ; encoding: [0x02,0x00,0xfa,0xd6,0x04,0x01,0x05,0x02]

v_mad_nc_u64_u32 v[2:3], v4, 3, s[2:3]
// GFX1250: v_mad_nc_u64_u32 v[2:3], v4, 3, s[2:3]  ; encoding: [0x02,0x00,0xfa,0xd6,0x04,0x07,0x09,0x00]

v_mad_nc_u64_u32 v[2:3], s4, 4, v[2:3]
// GFX1250: v_mad_nc_u64_u32 v[2:3], s4, 4, v[2:3]  ; encoding: [0x02,0x00,0xfa,0xd6,0x04,0x08,0x09,0x04]

v_mad_nc_u64_u32 v[2:3], v4, v7, 12345
// GFX1250: v_mad_nc_u64_u32 v[2:3], v4, v7, 0x3039 ; encoding: [0x02,0x00,0xfa,0xd6,0x04,0x0f,0xfe,0x03,0x39,0x30,0x00,0x00]

v_mad_nc_u64_u32 v[2:3], s4, v7, v[8:9] clamp
// GFX1250: v_mad_nc_u64_u32 v[2:3], s4, v7, v[8:9] clamp ; encoding: [0x02,0x80,0xfa,0xd6,0x04,0x0e,0x22,0x04]

v_mad_nc_i64_i32 v[2:3], s4, v7, v[8:9]
// GFX1250: v_mad_nc_i64_i32 v[2:3], s4, v7, v[8:9] ; encoding: [0x02,0x00,0xfb,0xd6,0x04,0x0e,0x22,0x04]

v_mad_nc_i64_i32 v[2:3], v4, 0, 1
// GFX1250: v_mad_nc_i64_i32 v[2:3], v4, 0, 1       ; encoding: [0x02,0x00,0xfb,0xd6,0x04,0x01,0x05,0x02]

v_mad_nc_i64_i32 v[2:3], v4, 3, s[2:3]
// GFX1250: v_mad_nc_i64_i32 v[2:3], v4, 3, s[2:3]  ; encoding: [0x02,0x00,0xfb,0xd6,0x04,0x07,0x09,0x00]

v_mad_nc_i64_i32 v[2:3], s4, 4, v[2:3]
// GFX1250: v_mad_nc_i64_i32 v[2:3], s4, 4, v[2:3]  ; encoding: [0x02,0x00,0xfb,0xd6,0x04,0x08,0x09,0x04]

v_mad_nc_i64_i32 v[2:3], v4, v7, 12345
// GFX1250: v_mad_nc_i64_i32 v[2:3], v4, v7, 0x3039 ; encoding: [0x02,0x00,0xfb,0xd6,0x04,0x0f,0xfe,0x03,0x39,0x30,0x00,0x00]

v_mad_nc_i64_i32 v[2:3], s4, v7, v[8:9] clamp
// GFX1250: v_mad_nc_i64_i32 v[2:3], s4, v7, v[8:9] clamp ; encoding: [0x02,0x80,0xfb,0xd6,0x04,0x0e,0x22,0x04]

v_add_min_i32 v2, s4, v7, v8
// GFX1250: v_add_min_i32 v2, s4, v7, v8            ; encoding: [0x02,0x00,0x60,0xd6,0x04,0x0e,0x22,0x04]

v_add_min_i32 v2, v4, 0, 1
// GFX1250: v_add_min_i32 v2, v4, 0, 1              ; encoding: [0x02,0x00,0x60,0xd6,0x04,0x01,0x05,0x02]

v_add_min_i32 v2, v4, 3, s2
// GFX1250: v_add_min_i32 v2, v4, 3, s2             ; encoding: [0x02,0x00,0x60,0xd6,0x04,0x07,0x09,0x00]

v_add_min_i32 v2, s4, 4, v2
// GFX1250: v_add_min_i32 v2, s4, 4, v2             ; encoding: [0x02,0x00,0x60,0xd6,0x04,0x08,0x09,0x04]

v_add_min_i32 v2, v4, v7, 12345
// GFX1250: v_add_min_i32 v2, v4, v7, 0x3039        ; encoding: [0x02,0x00,0x60,0xd6,0x04,0x0f,0xfe,0x03,0x39,0x30,0x00,0x00]

v_add_min_i32 v0, v1, v2, v3 clamp
// GFX1250: v_add_min_i32 v0, v1, v2, v3 clamp      ; encoding: [0x00,0x80,0x60,0xd6,0x01,0x05,0x0e,0x04]

v_add_max_i32 v2, s4, v7, v8
// GFX1250: v_add_max_i32 v2, s4, v7, v8            ; encoding: [0x02,0x00,0x5e,0xd6,0x04,0x0e,0x22,0x04]

v_add_max_i32 v2, v4, 0, 1
// GFX1250: v_add_max_i32 v2, v4, 0, 1              ; encoding: [0x02,0x00,0x5e,0xd6,0x04,0x01,0x05,0x02]

v_add_max_i32 v2, v4, 3, s2
// GFX1250: v_add_max_i32 v2, v4, 3, s2             ; encoding: [0x02,0x00,0x5e,0xd6,0x04,0x07,0x09,0x00]

v_add_max_i32 v2, s4, 4, v2
// GFX1250: v_add_max_i32 v2, s4, 4, v2             ; encoding: [0x02,0x00,0x5e,0xd6,0x04,0x08,0x09,0x04]

v_add_max_i32 v2, v4, v7, 12345
// GFX1250: v_add_max_i32 v2, v4, v7, 0x3039        ; encoding: [0x02,0x00,0x5e,0xd6,0x04,0x0f,0xfe,0x03,0x39,0x30,0x00,0x00]

v_add_max_i32 v0, v1, v2, v3 clamp
// GFX1250: v_add_max_i32 v0, v1, v2, v3 clamp      ; encoding: [0x00,0x80,0x5e,0xd6,0x01,0x05,0x0e,0x04]

v_add_min_u32 v2, s4, v7, v8
// GFX1250: v_add_min_u32 v2, s4, v7, v8            ; encoding: [0x02,0x00,0x61,0xd6,0x04,0x0e,0x22,0x04]

v_add_min_u32 v2, v4, 0, 1
// GFX1250: v_add_min_u32 v2, v4, 0, 1              ; encoding: [0x02,0x00,0x61,0xd6,0x04,0x01,0x05,0x02]

v_add_min_u32 v2, v4, 3, s2
// GFX1250: v_add_min_u32 v2, v4, 3, s2             ; encoding: [0x02,0x00,0x61,0xd6,0x04,0x07,0x09,0x00]

v_add_min_u32 v2, s4, 4, v2
// GFX1250: v_add_min_u32 v2, s4, 4, v2             ; encoding: [0x02,0x00,0x61,0xd6,0x04,0x08,0x09,0x04]

v_add_min_u32 v2, v4, v7, 12345
// GFX1250: v_add_min_u32 v2, v4, v7, 0x3039        ; encoding: [0x02,0x00,0x61,0xd6,0x04,0x0f,0xfe,0x03,0x39,0x30,0x00,0x00]

v_add_min_u32 v0, v1, v2, v3 clamp
// GFX1250: v_add_min_u32 v0, v1, v2, v3 clamp      ; encoding: [0x00,0x80,0x61,0xd6,0x01,0x05,0x0e,0x04]

v_add_max_u32 v2, s4, v7, v8
// GFX1250: v_add_max_u32 v2, s4, v7, v8            ; encoding: [0x02,0x00,0x5f,0xd6,0x04,0x0e,0x22,0x04]

v_add_max_u32 v2, v4, 0, 1
// GFX1250: v_add_max_u32 v2, v4, 0, 1              ; encoding: [0x02,0x00,0x5f,0xd6,0x04,0x01,0x05,0x02]

v_add_max_u32 v2, v4, 3, s2
// GFX1250: v_add_max_u32 v2, v4, 3, s2             ; encoding: [0x02,0x00,0x5f,0xd6,0x04,0x07,0x09,0x00]

v_add_max_u32 v2, s4, 4, v2
// GFX1250: v_add_max_u32 v2, s4, 4, v2             ; encoding: [0x02,0x00,0x5f,0xd6,0x04,0x08,0x09,0x04]

v_add_max_u32 v2, v4, v7, 12345
// GFX1250: v_add_max_u32 v2, v4, v7, 0x3039        ; encoding: [0x02,0x00,0x5f,0xd6,0x04,0x0f,0xfe,0x03,0x39,0x30,0x00,0x00]

v_add_max_u32 v0, v1, v2, v3 clamp
// GFX1250: v_add_max_u32 v0, v1, v2, v3 clamp      ; encoding: [0x00,0x80,0x5f,0xd6,0x01,0x05,0x0e,0x04]

v_cvt_pk_bf16_f32 v5, v1, v2
// GFX1250: v_cvt_pk_bf16_f32 v5, v1, v2            ; encoding: [0x05,0x00,0x6d,0xd7,0x01,0x05,0x02,0x02]

v_cvt_pk_bf16_f32 v5, v255, v255
// GFX1250: v_cvt_pk_bf16_f32 v5, v255, v255        ; encoding: [0x05,0x00,0x6d,0xd7,0xff,0xff,0x03,0x02]

v_cvt_pk_bf16_f32 v5, s1, s2
// GFX1250: v_cvt_pk_bf16_f32 v5, s1, s2            ; encoding: [0x05,0x00,0x6d,0xd7,0x01,0x04,0x00,0x02]

v_cvt_pk_bf16_f32 v5, s105, s105
// GFX1250: v_cvt_pk_bf16_f32 v5, s105, s105        ; encoding: [0x05,0x00,0x6d,0xd7,0x69,0xd2,0x00,0x02]

v_cvt_pk_bf16_f32 v5, vcc_lo, ttmp15
// GFX1250: v_cvt_pk_bf16_f32 v5, vcc_lo, ttmp15    ; encoding: [0x05,0x00,0x6d,0xd7,0x6a,0xf6,0x00,0x02]

v_cvt_pk_bf16_f32 v5, vcc_hi, 0xaf123456
// GFX1250: v_cvt_pk_bf16_f32 v5, vcc_hi, 0xaf123456 ; encoding: [0x05,0x00,0x6d,0xd7,0x6b,0xfe,0x01,0x02,0x56,0x34,0x12,0xaf]

v_cvt_pk_bf16_f32 v5, ttmp15, src_scc
// GFX1250: v_cvt_pk_bf16_f32 v5, ttmp15, src_scc   ; encoding: [0x05,0x00,0x6d,0xd7,0x7b,0xfa,0x01,0x02]

v_cvt_pk_bf16_f32 v5, m0, 0.5
// GFX1250: v_cvt_pk_bf16_f32 v5, m0, 0.5           ; encoding: [0x05,0x00,0x6d,0xd7,0x7d,0xe0,0x01,0x02]

v_cvt_pk_bf16_f32 v5, exec_lo, -1
// GFX1250: v_cvt_pk_bf16_f32 v5, exec_lo, -1       ; encoding: [0x05,0x00,0x6d,0xd7,0x7e,0x82,0x01,0x02]

v_cvt_pk_bf16_f32 v5, exec_hi, null
// GFX1250: v_cvt_pk_bf16_f32 v5, exec_hi, null     ; encoding: [0x05,0x00,0x6d,0xd7,0x7f,0xf8,0x00,0x02]

v_cvt_pk_bf16_f32 v5, null, exec_lo
// GFX1250: v_cvt_pk_bf16_f32 v5, null, exec_lo     ; encoding: [0x05,0x00,0x6d,0xd7,0x7c,0xfc,0x00,0x02]

v_cvt_pk_bf16_f32 v5, -1, exec_hi
// GFX1250: v_cvt_pk_bf16_f32 v5, -1, exec_hi       ; encoding: [0x05,0x00,0x6d,0xd7,0xc1,0xfe,0x00,0x02]

v_cvt_pk_bf16_f32 v5, 0.5, m0 mul:2
// GFX1250: v_cvt_pk_bf16_f32 v5, 0.5, m0 mul:2     ; encoding: [0x05,0x00,0x6d,0xd7,0xf0,0xfa,0x00,0x0a]

v_cvt_pk_bf16_f32 v5, src_scc, vcc_lo mul:4
// GFX1250: v_cvt_pk_bf16_f32 v5, src_scc, vcc_lo mul:4 ; encoding: [0x05,0x00,0x6d,0xd7,0xfd,0xd4,0x00,0x12]

v_cvt_pk_bf16_f32 v255, -|0xaf123456|, vcc_hi clamp div:2
// GFX1250: v_cvt_pk_bf16_f32 v255, -|0xaf123456|, vcc_hi clamp div:2 ; encoding: [0xff,0x81,0x6d,0xd7,0xff,0xd6,0x00,0x3a,0x56,0x34,0x12,0xaf]

v_cvt_sr_pk_bf16_f32 v5, v1, v2, s3
// GFX1250: v_cvt_sr_pk_bf16_f32 v5, v1, v2, s3     ; encoding: [0x05,0x00,0x6e,0xd7,0x01,0x05,0x0e,0x00]

v_cvt_sr_pk_bf16_f32 v5, v255, s2, s105
// GFX1250: v_cvt_sr_pk_bf16_f32 v5, v255, s2, s105 ; encoding: [0x05,0x00,0x6e,0xd7,0xff,0x05,0xa4,0x01]

v_cvt_sr_pk_bf16_f32 v5, s1, v255, exec_hi
// GFX1250: v_cvt_sr_pk_bf16_f32 v5, s1, v255, exec_hi ; encoding: [0x05,0x00,0x6e,0xd7,0x01,0xfe,0xff,0x01]

v_cvt_sr_pk_bf16_f32 v5, s105, s105, exec_lo
// GFX1250: v_cvt_sr_pk_bf16_f32 v5, s105, s105, exec_lo ; encoding: [0x05,0x00,0x6e,0xd7,0x69,0xd2,0xf8,0x01]

v_cvt_sr_pk_bf16_f32 v5, vcc_lo, ttmp15, v3
// GFX1250: v_cvt_sr_pk_bf16_f32 v5, vcc_lo, ttmp15, v3 ; encoding: [0x05,0x00,0x6e,0xd7,0x6a,0xf6,0x0c,0x04]

v_cvt_sr_pk_bf16_f32 v5, vcc_hi, 0xaf123456, v255
// GFX1250: v_cvt_sr_pk_bf16_f32 v5, vcc_hi, 0xaf123456, v255 ; encoding: [0x05,0x00,0x6e,0xd7,0x6b,0xfe,0xfd,0x07,0x56,0x34,0x12,0xaf]

v_cvt_sr_pk_bf16_f32 v5, -|ttmp15|, -|src_scc|, ttmp15
// GFX1250: v_cvt_sr_pk_bf16_f32 v5, -|ttmp15|, -|src_scc|, ttmp15 ; encoding: [0x05,0x03,0x6e,0xd7,0x7b,0xfa,0xed,0x61]

v_cvt_sr_pk_bf16_f32 v5, m0, 0.5, m0
// GFX1250: v_cvt_sr_pk_bf16_f32 v5, m0, 0.5, m0    ; encoding: [0x05,0x00,0x6e,0xd7,0x7d,0xe0,0xf5,0x01]

v_cvt_sr_pk_bf16_f32 v5, |exec_lo|, -1, vcc_hi
// GFX1250: v_cvt_sr_pk_bf16_f32 v5, |exec_lo|, -1, vcc_hi ; encoding: [0x05,0x01,0x6e,0xd7,0x7e,0x82,0xad,0x01]

v_cvt_sr_pk_bf16_f32 v5, -|exec_hi|, null, vcc_lo
// GFX1250: v_cvt_sr_pk_bf16_f32 v5, -|exec_hi|, null, vcc_lo ; encoding: [0x05,0x01,0x6e,0xd7,0x7f,0xf8,0xa8,0x21]

v_cvt_sr_pk_bf16_f32 v5, null, exec_lo, 0xaf123456
// GFX1250: v_cvt_sr_pk_bf16_f32 v5, null, exec_lo, 0xaf123456 ; encoding: [0x05,0x00,0x6e,0xd7,0x7c,0xfc,0xfc,0x03,0x56,0x34,0x12,0xaf]

v_cvt_sr_pk_bf16_f32 v5, -1, -|exec_hi|, src_scc
// GFX1250: v_cvt_sr_pk_bf16_f32 v5, -1, -|exec_hi|, src_scc ; encoding: [0x05,0x02,0x6e,0xd7,0xc1,0xfe,0xf4,0x43]

v_cvt_sr_pk_bf16_f32 v5, 0.5, -m0, 0.5 mul:2
// GFX1250: v_cvt_sr_pk_bf16_f32 v5, 0.5, -m0, 0.5 mul:2 ; encoding: [0x05,0x00,0x6e,0xd7,0xf0,0xfa,0xc0,0x4b]

v_cvt_sr_pk_bf16_f32 v5, -src_scc, |vcc_lo|, -1 mul:4
// GFX1250: v_cvt_sr_pk_bf16_f32 v5, -src_scc, |vcc_lo|, -1 mul:4 ; encoding: [0x05,0x02,0x6e,0xd7,0xfd,0xd4,0x04,0x33]

v_cvt_sr_pk_bf16_f32 v255, -|0xaf123456|, -|vcc_hi|, null clamp div:2
// GFX1250: v_cvt_sr_pk_bf16_f32 v255, -|0xaf123456|, -|vcc_hi|, null clamp div:2 ; encoding: [0xff,0x83,0x6e,0xd7,0xff,0xd6,0xf0,0x79,0x56,0x34,0x12,0xaf]

v_ashr_pk_i8_i32 v2, s4, v7, v8
// GFX1250: v_ashr_pk_i8_i32 v2, s4, v7, v8         ; encoding: [0x02,0x00,0x90,0xd6,0x04,0x0e,0x22,0x04]

v_ashr_pk_i8_i32 v2, v4, 0, 1
// GFX1250: v_ashr_pk_i8_i32 v2, v4, 0, 1           ; encoding: [0x02,0x00,0x90,0xd6,0x04,0x01,0x05,0x02]

v_ashr_pk_i8_i32 v2, v4, 3, s2
// GFX1250: v_ashr_pk_i8_i32 v2, v4, 3, s2          ; encoding: [0x02,0x00,0x90,0xd6,0x04,0x07,0x09,0x00]

v_ashr_pk_i8_i32 v2, s4, 4, v2
// GFX1250: v_ashr_pk_i8_i32 v2, s4, 4, v2          ; encoding: [0x02,0x00,0x90,0xd6,0x04,0x08,0x09,0x04]

v_ashr_pk_i8_i32 v2, v4, v7, 12345
// GFX1250: v_ashr_pk_i8_i32 v2, v4, v7, 0x3039     ; encoding: [0x02,0x00,0x90,0xd6,0x04,0x0f,0xfe,0x03,0x39,0x30,0x00,0x00]

v_ashr_pk_i8_i32 v1, v2, v3, v4 op_sel:[0,0,0,1]
// GFX1250: v_ashr_pk_i8_i32 v1, v2, v3, v4 op_sel:[0,0,0,1] ; encoding: [0x01,0x40,0x90,0xd6,0x02,0x07,0x12,0x04]

v_ashr_pk_u8_i32 v2, s4, v7, v8
// GFX1250: v_ashr_pk_u8_i32 v2, s4, v7, v8         ; encoding: [0x02,0x00,0x91,0xd6,0x04,0x0e,0x22,0x04]

v_ashr_pk_u8_i32 v2, v4, 0, 1
// GFX1250: v_ashr_pk_u8_i32 v2, v4, 0, 1           ; encoding: [0x02,0x00,0x91,0xd6,0x04,0x01,0x05,0x02]

v_ashr_pk_u8_i32 v2, v4, 3, s2
// GFX1250: v_ashr_pk_u8_i32 v2, v4, 3, s2          ; encoding: [0x02,0x00,0x91,0xd6,0x04,0x07,0x09,0x00]

v_ashr_pk_u8_i32 v2, s4, 4, v2
// GFX1250: v_ashr_pk_u8_i32 v2, s4, 4, v2          ; encoding: [0x02,0x00,0x91,0xd6,0x04,0x08,0x09,0x04]

v_ashr_pk_u8_i32 v2, v4, v7, 12345
// GFX1250: v_ashr_pk_u8_i32 v2, v4, v7, 0x3039     ; encoding: [0x02,0x00,0x91,0xd6,0x04,0x0f,0xfe,0x03,0x39,0x30,0x00,0x00]

v_ashr_pk_u8_i32 v1, v2, v3, v4 op_sel:[0,0,0,1]
// GFX1250: v_ashr_pk_u8_i32 v1, v2, v3, v4 op_sel:[0,0,0,1] ; encoding: [0x01,0x40,0x91,0xd6,0x02,0x07,0x12,0x04]

v_cvt_pk_bf8_f16 v1, v2 op_sel:[0,0]
// GFX1250: v_cvt_pk_bf8_f16 v1, v2                 ; encoding: [0x01,0x00,0x73,0xd7,0x02,0x01,0x01,0x02]

v_cvt_pk_bf8_f16 v1, v2 op_sel:[0,1]
// GFX1250: v_cvt_pk_bf8_f16 v1, v2 op_sel:[0,1]    ; encoding: [0x01,0x40,0x73,0xd7,0x02,0x01,0x01,0x02]

v_cvt_pk_bf8_f16 v1, v2 clamp
// GFX1250: v_cvt_pk_bf8_f16 v1, v2 clamp           ; encoding: [0x01,0x80,0x73,0xd7,0x02,0x01,0x01,0x02]

v_cvt_pk_bf8_f16 v1, s2
// GFX1250: v_cvt_pk_bf8_f16 v1, s2                 ; encoding: [0x01,0x00,0x73,0xd7,0x02,0x00,0x01,0x02]

v_cvt_pk_bf8_f16 v1, 100.0
// GFX1250: v_cvt_pk_bf8_f16 v1, 0x5640             ; encoding: [0x01,0x00,0x73,0xd7,0xff,0x00,0x01,0x02,0x40,0x56,0x00,0x00]

// Inline constants are not supported by v_cvt_pk_bf8_f16

v_cvt_pk_bf8_f16 v1, 1
// GFX1250: v_cvt_pk_bf8_f16 v1, 1                  ; encoding: [0x01,0x00,0x73,0xd7,0xff,0x00,0x01,0x02,0x01,0x00,0x00,0x00]

v_cvt_pk_bf8_f16 v1, 0x3800
// GFX1250: v_cvt_pk_bf8_f16 v1, 0x3800             ; encoding: [0x01,0x00,0x73,0xd7,0xff,0x00,0x01,0x02,0x00,0x38,0x00,0x00]

v_cvt_pk_bf8_f16 v1, 0.5
// GFX1250: v_cvt_pk_bf8_f16 v1, 0x3800             ; encoding: [0x01,0x00,0x73,0xd7,0xff,0x00,0x01,0x02,0x00,0x38,0x00,0x00]

v_cvt_pk_bf8_f16 v1, 0x3118
// GFX1250: v_cvt_pk_bf8_f16 v1, 0x3118             ; encoding: [0x01,0x00,0x73,0xd7,0xff,0x00,0x01,0x02,0x18,0x31,0x00,0x00]

v_cvt_pk_bf8_f16 v1, 0.15915494
// GFX1250: v_cvt_pk_bf8_f16 v1, 0x3118             ; encoding: [0x01,0x00,0x73,0xd7,0xff,0x00,0x01,0x02,0x18,0x31,0x00,0x00]

v_cvt_pk_fp8_f16 v1, v2 op_sel:[0,0]
// GFX1250: v_cvt_pk_fp8_f16 v1, v2                 ; encoding: [0x01,0x00,0x72,0xd7,0x02,0x01,0x01,0x02]

v_cvt_pk_fp8_f16 v1, v2 op_sel:[0,1]
// GFX1250: v_cvt_pk_fp8_f16 v1, v2 op_sel:[0,1]    ; encoding: [0x01,0x40,0x72,0xd7,0x02,0x01,0x01,0x02]

v_cvt_pk_fp8_f16 v1, v2 clamp
// GFX1250: v_cvt_pk_fp8_f16 v1, v2 clamp           ; encoding: [0x01,0x80,0x72,0xd7,0x02,0x01,0x01,0x02]

v_cvt_pk_fp8_f16 v1, s2
// GFX1250: v_cvt_pk_fp8_f16 v1, s2                 ; encoding: [0x01,0x00,0x72,0xd7,0x02,0x00,0x01,0x02]

v_cvt_pk_fp8_f16 v1, 100.0
// GFX1250: v_cvt_pk_fp8_f16 v1, 0x5640             ; encoding: [0x01,0x00,0x72,0xd7,0xff,0x00,0x01,0x02,0x40,0x56,0x00,0x00]

// Inline constants are not supported by v_cvt_pk_fp8_f16

v_cvt_pk_fp8_f16 v1, 1
// GFX1250: v_cvt_pk_fp8_f16 v1, 1                  ; encoding: [0x01,0x00,0x72,0xd7,0xff,0x00,0x01,0x02,0x01,0x00,0x00,0x00]

v_cvt_pk_fp8_f16 v1, 0x3800
// GFX1250: v_cvt_pk_fp8_f16 v1, 0x3800             ; encoding: [0x01,0x00,0x72,0xd7,0xff,0x00,0x01,0x02,0x00,0x38,0x00,0x00]

v_cvt_pk_fp8_f16 v1, 0.5
// GFX1250: v_cvt_pk_fp8_f16 v1, 0x3800             ; encoding: [0x01,0x00,0x72,0xd7,0xff,0x00,0x01,0x02,0x00,0x38,0x00,0x00]

v_cvt_pk_fp8_f16 v1, 0x3118
// GFX1250: v_cvt_pk_fp8_f16 v1, 0x3118             ; encoding: [0x01,0x00,0x72,0xd7,0xff,0x00,0x01,0x02,0x18,0x31,0x00,0x00]

v_cvt_pk_fp8_f16 v1, 0.15915494
// GFX1250: v_cvt_pk_fp8_f16 v1, 0x3118             ; encoding: [0x01,0x00,0x72,0xd7,0xff,0x00,0x01,0x02,0x18,0x31,0x00,0x00]

v_cvt_pk_f16_f32 v5, v1, v2
// GFX1250: v_cvt_pk_f16_f32 v5, v1, v2             ; encoding: [0x05,0x00,0x6f,0xd7,0x01,0x05,0x02,0x02]

v_cvt_pk_f16_f32 v5, v255, v255
// GFX1250: v_cvt_pk_f16_f32 v5, v255, v255         ; encoding: [0x05,0x00,0x6f,0xd7,0xff,0xff,0x03,0x02]

v_cvt_pk_f16_f32 v5, s1, s2
// GFX1250: v_cvt_pk_f16_f32 v5, s1, s2             ; encoding: [0x05,0x00,0x6f,0xd7,0x01,0x04,0x00,0x02]

v_cvt_pk_f16_f32 v5, s105, s105
// GFX1250: v_cvt_pk_f16_f32 v5, s105, s105         ; encoding: [0x05,0x00,0x6f,0xd7,0x69,0xd2,0x00,0x02]

v_cvt_pk_f16_f32 v5, vcc_lo, ttmp15
// GFX1250: v_cvt_pk_f16_f32 v5, vcc_lo, ttmp15     ; encoding: [0x05,0x00,0x6f,0xd7,0x6a,0xf6,0x00,0x02]

v_cvt_pk_f16_f32 v5, vcc_hi, 0xaf123456
// GFX1250: v_cvt_pk_f16_f32 v5, vcc_hi, 0xaf123456 ; encoding: [0x05,0x00,0x6f,0xd7,0x6b,0xfe,0x01,0x02,0x56,0x34,0x12,0xaf]

v_cvt_pk_f16_f32 v5, ttmp15, src_scc
// GFX1250: v_cvt_pk_f16_f32 v5, ttmp15, src_scc    ; encoding: [0x05,0x00,0x6f,0xd7,0x7b,0xfa,0x01,0x02]

v_cvt_pk_f16_f32 v5, m0, 0.5
// GFX1250: v_cvt_pk_f16_f32 v5, m0, 0.5            ; encoding: [0x05,0x00,0x6f,0xd7,0x7d,0xe0,0x01,0x02]

v_cvt_pk_f16_f32 v5, exec_lo, -1
// GFX1250: v_cvt_pk_f16_f32 v5, exec_lo, -1        ; encoding: [0x05,0x00,0x6f,0xd7,0x7e,0x82,0x01,0x02]

v_cvt_pk_f16_f32 v5, exec_hi, null
// GFX1250: v_cvt_pk_f16_f32 v5, exec_hi, null      ; encoding: [0x05,0x00,0x6f,0xd7,0x7f,0xf8,0x00,0x02]

v_cvt_pk_f16_f32 v5, null, exec_lo
// GFX1250: v_cvt_pk_f16_f32 v5, null, exec_lo      ; encoding: [0x05,0x00,0x6f,0xd7,0x7c,0xfc,0x00,0x02]

v_cvt_pk_f16_f32 v5, -1, exec_hi
// GFX1250: v_cvt_pk_f16_f32 v5, -1, exec_hi        ; encoding: [0x05,0x00,0x6f,0xd7,0xc1,0xfe,0x00,0x02]

v_cvt_pk_f16_f32 v5, 0.5, m0 mul:2
// GFX1250: v_cvt_pk_f16_f32 v5, 0.5, m0 mul:2      ; encoding: [0x05,0x00,0x6f,0xd7,0xf0,0xfa,0x00,0x0a]

v_cvt_pk_f16_f32 v5, src_scc, vcc_lo mul:4
// GFX1250: v_cvt_pk_f16_f32 v5, src_scc, vcc_lo mul:4 ; encoding: [0x05,0x00,0x6f,0xd7,0xfd,0xd4,0x00,0x12]

v_cvt_pk_f16_f32 v255, -|0xaf123456|, vcc_hi clamp div:2
// GFX1250: v_cvt_pk_f16_f32 v255, -|0xaf123456|, vcc_hi clamp div:2 ; encoding: [0xff,0x81,0x6f,0xd7,0xff,0xd6,0x00,0x3a,0x56,0x34,0x12,0xaf]

v_cvt_sr_pk_f16_f32 v5, v1, v2, s3
// GFX1250: v_cvt_sr_pk_f16_f32 v5, v1, v2, s3      ; encoding: [0x05,0x00,0x70,0xd7,0x01,0x05,0x0e,0x00]

v_cvt_sr_pk_f16_f32 v5, v255, s2, s105
// GFX1250: v_cvt_sr_pk_f16_f32 v5, v255, s2, s105  ; encoding: [0x05,0x00,0x70,0xd7,0xff,0x05,0xa4,0x01]

v_cvt_sr_pk_f16_f32 v5, s1, v255, exec_hi
// GFX1250: v_cvt_sr_pk_f16_f32 v5, s1, v255, exec_hi ; encoding: [0x05,0x00,0x70,0xd7,0x01,0xfe,0xff,0x01]

v_cvt_sr_pk_f16_f32 v5, s105, s105, exec_lo
// GFX1250: v_cvt_sr_pk_f16_f32 v5, s105, s105, exec_lo ; encoding: [0x05,0x00,0x70,0xd7,0x69,0xd2,0xf8,0x01]

v_cvt_sr_pk_f16_f32 v5, vcc_lo, ttmp15, v3
// GFX1250: v_cvt_sr_pk_f16_f32 v5, vcc_lo, ttmp15, v3 ; encoding: [0x05,0x00,0x70,0xd7,0x6a,0xf6,0x0c,0x04]

v_cvt_sr_pk_f16_f32 v5, vcc_hi, 0xaf123456, v255
// GFX1250: v_cvt_sr_pk_f16_f32 v5, vcc_hi, 0xaf123456, v255 ; encoding: [0x05,0x00,0x70,0xd7,0x6b,0xfe,0xfd,0x07,0x56,0x34,0x12,0xaf]

v_cvt_sr_pk_f16_f32 v5, -|ttmp15|, -|src_scc|, ttmp15
// GFX1250: v_cvt_sr_pk_f16_f32 v5, -|ttmp15|, -|src_scc|, ttmp15 ; encoding: [0x05,0x03,0x70,0xd7,0x7b,0xfa,0xed,0x61]

v_cvt_sr_pk_f16_f32 v5, m0, 0.5, m0
// GFX1250: v_cvt_sr_pk_f16_f32 v5, m0, 0.5, m0     ; encoding: [0x05,0x00,0x70,0xd7,0x7d,0xe0,0xf5,0x01]

v_cvt_sr_pk_f16_f32 v5, |exec_lo|, -1, vcc_hi
// GFX1250: v_cvt_sr_pk_f16_f32 v5, |exec_lo|, -1, vcc_hi ; encoding: [0x05,0x01,0x70,0xd7,0x7e,0x82,0xad,0x01]

v_cvt_sr_pk_f16_f32 v5, -|exec_hi|, null, vcc_lo
// GFX1250: v_cvt_sr_pk_f16_f32 v5, -|exec_hi|, null, vcc_lo ; encoding: [0x05,0x01,0x70,0xd7,0x7f,0xf8,0xa8,0x21]

v_cvt_sr_pk_f16_f32 v5, null, exec_lo, 0xaf123456
// GFX1250: v_cvt_sr_pk_f16_f32 v5, null, exec_lo, 0xaf123456 ; encoding: [0x05,0x00,0x70,0xd7,0x7c,0xfc,0xfc,0x03,0x56,0x34,0x12,0xaf]

v_cvt_sr_pk_f16_f32 v5, -1, -|exec_hi|, src_scc
// GFX1250: v_cvt_sr_pk_f16_f32 v5, -1, -|exec_hi|, src_scc ; encoding: [0x05,0x02,0x70,0xd7,0xc1,0xfe,0xf4,0x43]

v_cvt_sr_pk_f16_f32 v5, 0.5, -m0, 0.5 mul:2
// GFX1250: v_cvt_sr_pk_f16_f32 v5, 0.5, -m0, 0.5 mul:2 ; encoding: [0x05,0x00,0x70,0xd7,0xf0,0xfa,0xc0,0x4b]

v_cvt_sr_pk_f16_f32 v5, -src_scc, |vcc_lo|, -1 mul:4
// GFX1250: v_cvt_sr_pk_f16_f32 v5, -src_scc, |vcc_lo|, -1 mul:4 ; encoding: [0x05,0x02,0x70,0xd7,0xfd,0xd4,0x04,0x33]

v_cvt_sr_pk_f16_f32 v255, -|0xaf123456|, -|vcc_hi|, null clamp div:2
// GFX1250: v_cvt_sr_pk_f16_f32 v255, -|0xaf123456|, -|vcc_hi|, null clamp div:2 ; encoding: [0xff,0x83,0x70,0xd7,0xff,0xd6,0xf0,0x79,0x56,0x34,0x12,0xaf]

v_cvt_sr_bf8_f16 v1, v2, v3
// GFX1250: v_cvt_sr_bf8_f16 v1, v2, v3             ; encoding: [0x01,0x00,0x75,0xd7,0x02,0x07,0x02,0x02]

v_cvt_sr_bf8_f16 v1, v2, v3 op_sel:[1]
// GFX1250: v_cvt_sr_bf8_f16 v1, v2, v3 op_sel:[1,0,0] ; encoding: [0x01,0x08,0x75,0xd7,0x02,0x07,0x02,0x02]

v_cvt_sr_bf8_f16 v1, v2, v3 byte_sel:0
// GFX1250: v_cvt_sr_bf8_f16 v1, v2, v3             ; encoding: [0x01,0x00,0x75,0xd7,0x02,0x07,0x02,0x02]

v_cvt_sr_bf8_f16 v1, v2, s3
// GFX1250: v_cvt_sr_bf8_f16 v1, v2, s3             ; encoding: [0x01,0x00,0x75,0xd7,0x02,0x07,0x00,0x02]

v_cvt_sr_bf8_f16 v1, v2, 0x1234
// GFX1250: v_cvt_sr_bf8_f16 v1, v2, 0x1234         ; encoding: [0x01,0x00,0x75,0xd7,0x02,0xff,0x01,0x02,0x34,0x12,0x00,0x00]

v_cvt_sr_bf8_f16 v1, -v2, v3
// GFX1250: v_cvt_sr_bf8_f16 v1, -v2, v3            ; encoding: [0x01,0x00,0x75,0xd7,0x02,0x07,0x02,0x22]

v_cvt_sr_bf8_f16 v1, |v2|, v3
// GFX1250: v_cvt_sr_bf8_f16 v1, |v2|, v3           ; encoding: [0x01,0x01,0x75,0xd7,0x02,0x07,0x02,0x02]

v_cvt_sr_bf8_f16 v1, |v2|, v3 op_sel:[1]
// GFX1250: v_cvt_sr_bf8_f16 v1, |v2|, v3 op_sel:[1,0,0] ; encoding: [0x01,0x09,0x75,0xd7,0x02,0x07,0x02,0x02]

v_cvt_sr_bf8_f16 v1, v2, v3 byte_sel:2
// GFX1250: v_cvt_sr_bf8_f16 v1, v2, v3 byte_sel:2  ; encoding: [0x01,0x40,0x75,0xd7,0x02,0x07,0x02,0x02]

v_cvt_sr_bf8_f16 v1, v2, v3 byte_sel:1
// GFX1250: v_cvt_sr_bf8_f16 v1, v2, v3 byte_sel:1  ; encoding: [0x01,0x20,0x75,0xd7,0x02,0x07,0x02,0x02]
	;; [unrolled: 3-line block ×3, first 2 shown]

v_cvt_sr_bf8_f16 v1, v2, v3 op_sel:[1] byte_sel:1
// GFX1250: v_cvt_sr_bf8_f16 v1, v2, v3 op_sel:[1,0,0] byte_sel:1 ; encoding: [0x01,0x28,0x75,0xd7,0x02,0x07,0x02,0x02]

v_cvt_sr_bf8_f16 v1, v2, v3 op_sel:[1] byte_sel:2
// GFX1250: v_cvt_sr_bf8_f16 v1, v2, v3 op_sel:[1,0,0] byte_sel:2 ; encoding: [0x01,0x48,0x75,0xd7,0x02,0x07,0x02,0x02]
	;; [unrolled: 3-line block ×3, first 2 shown]

v_cvt_sr_fp8_f16 v1, v2, v3
// GFX1250: v_cvt_sr_fp8_f16 v1, v2, v3             ; encoding: [0x01,0x00,0x74,0xd7,0x02,0x07,0x02,0x02]

v_cvt_sr_fp8_f16 v1, v2, v3 op_sel:[1]
// GFX1250: v_cvt_sr_fp8_f16 v1, v2, v3 op_sel:[1,0,0] ; encoding: [0x01,0x08,0x74,0xd7,0x02,0x07,0x02,0x02]

v_cvt_sr_fp8_f16 v1, v2, s3
// GFX1250: v_cvt_sr_fp8_f16 v1, v2, s3             ; encoding: [0x01,0x00,0x74,0xd7,0x02,0x07,0x00,0x02]

v_cvt_sr_fp8_f16 v1, v2, 0x1234
// GFX1250: v_cvt_sr_fp8_f16 v1, v2, 0x1234         ; encoding: [0x01,0x00,0x74,0xd7,0x02,0xff,0x01,0x02,0x34,0x12,0x00,0x00]

v_cvt_sr_fp8_f16 v1, -v2, v3
// GFX1250: v_cvt_sr_fp8_f16 v1, -v2, v3            ; encoding: [0x01,0x00,0x74,0xd7,0x02,0x07,0x02,0x22]

v_cvt_sr_fp8_f16 v1, |v2|, v3
// GFX1250: v_cvt_sr_fp8_f16 v1, |v2|, v3           ; encoding: [0x01,0x01,0x74,0xd7,0x02,0x07,0x02,0x02]

v_cvt_sr_fp8_f16 v1, |v2|, v3 op_sel:[1]
// GFX1250: v_cvt_sr_fp8_f16 v1, |v2|, v3 op_sel:[1,0,0] ; encoding: [0x01,0x09,0x74,0xd7,0x02,0x07,0x02,0x02]

v_cvt_sr_fp8_f16 v1, v2, v3 byte_sel:2
// GFX1250: v_cvt_sr_fp8_f16 v1, v2, v3 byte_sel:2  ; encoding: [0x01,0x40,0x74,0xd7,0x02,0x07,0x02,0x02]

v_cvt_sr_fp8_f16 v1, v2, v3 byte_sel:1
// GFX1250: v_cvt_sr_fp8_f16 v1, v2, v3 byte_sel:1  ; encoding: [0x01,0x20,0x74,0xd7,0x02,0x07,0x02,0x02]
	;; [unrolled: 3-line block ×3, first 2 shown]

v_cvt_sr_fp8_f16 v1, v2, v3 op_sel:[1] byte_sel:1
// GFX1250: v_cvt_sr_fp8_f16 v1, v2, v3 op_sel:[1,0,0] byte_sel:1 ; encoding: [0x01,0x28,0x74,0xd7,0x02,0x07,0x02,0x02]

v_cvt_sr_fp8_f16 v1, v2, v3 op_sel:[1] byte_sel:2
// GFX1250: v_cvt_sr_fp8_f16 v1, v2, v3 op_sel:[1,0,0] byte_sel:2 ; encoding: [0x01,0x48,0x74,0xd7,0x02,0x07,0x02,0x02]
	;; [unrolled: 3-line block ×3, first 2 shown]

v_cvt_pk_fp8_f32 v1, v2, v3
// GFX1250: v_cvt_pk_fp8_f32 v1, v2, v3             ; encoding: [0x01,0x00,0x69,0xd7,0x02,0x07,0x02,0x02]

v_cvt_pk_fp8_f32 v1, v2, v3 op_sel:[0,0,1]
// GFX1250: v_cvt_pk_fp8_f32 v1, v2, v3 op_sel:[0,0,1] ; encoding: [0x01,0x40,0x69,0xd7,0x02,0x07,0x02,0x02]

v_cvt_pk_fp8_f32 v1, -v2, |v3|
// GFX1250: v_cvt_pk_fp8_f32 v1, -v2, |v3|          ; encoding: [0x01,0x02,0x69,0xd7,0x02,0x07,0x02,0x22]

v_cvt_pk_fp8_f32 v1, s2, 3
// GFX1250: v_cvt_pk_fp8_f32 v1, s2, 3              ; encoding: [0x01,0x00,0x69,0xd7,0x02,0x06,0x01,0x02]

v_cvt_pk_fp8_f32 v1, v2, v3 clamp
// GFX1250: v_cvt_pk_fp8_f32 v1, v2, v3 clamp       ; encoding: [0x01,0x80,0x69,0xd7,0x02,0x07,0x02,0x02]

v_cvt_pk_fp8_f32 v1, v2, v3 op_sel:[0,0,1] clamp
// GFX1250: v_cvt_pk_fp8_f32 v1, v2, v3 op_sel:[0,0,1] clamp ; encoding: [0x01,0xc0,0x69,0xd7,0x02,0x07,0x02,0x02]

v_cvt_pk_bf8_f32 v1, v2, v3
// GFX1250: v_cvt_pk_bf8_f32 v1, v2, v3             ; encoding: [0x01,0x00,0x6a,0xd7,0x02,0x07,0x02,0x02]

v_cvt_pk_bf8_f32 v1, -v2, |v3|
// GFX1250: v_cvt_pk_bf8_f32 v1, -v2, |v3|          ; encoding: [0x01,0x02,0x6a,0xd7,0x02,0x07,0x02,0x22]

v_cvt_pk_bf8_f32 v1, s2, 3
// GFX1250: v_cvt_pk_bf8_f32 v1, s2, 3              ; encoding: [0x01,0x00,0x6a,0xd7,0x02,0x06,0x01,0x02]

v_cvt_sr_fp8_f32 v1, v2, v3
// GFX1250: v_cvt_sr_fp8_f32 v1, v2, v3             ; encoding: [0x01,0x00,0x6b,0xd7,0x02,0x07,0x02,0x02]

v_cvt_sr_fp8_f32 v10, s2, v5
// GFX1250: v_cvt_sr_fp8_f32 v10, s2, v5            ; encoding: [0x0a,0x00,0x6b,0xd7,0x02,0x0a,0x02,0x02]

v_cvt_sr_fp8_f32 v5, -|v255|, v4
// GFX1250: v_cvt_sr_fp8_f32 v5, -|v255|, v4        ; encoding: [0x05,0x01,0x6b,0xd7,0xff,0x09,0x02,0x22]

v_cvt_sr_fp8_f32 v1, v2, v3 clamp
// GFX1250: v_cvt_sr_fp8_f32 v1, v2, v3 clamp       ; encoding: [0x01,0x80,0x6b,0xd7,0x02,0x07,0x02,0x02]

v_cvt_sr_bf8_f32 v1, v2, v3
// GFX1250: v_cvt_sr_bf8_f32 v1, v2, v3             ; encoding: [0x01,0x00,0x6c,0xd7,0x02,0x07,0x02,0x02]

v_cvt_sr_bf8_f32 v10, s2, v5
// GFX1250: v_cvt_sr_bf8_f32 v10, s2, v5            ; encoding: [0x0a,0x00,0x6c,0xd7,0x02,0x0a,0x02,0x02]

v_cvt_sr_bf8_f32 v5, -|v255|, v4
// GFX1250: v_cvt_sr_bf8_f32 v5, -|v255|, v4        ; encoding: [0x05,0x01,0x6c,0xd7,0xff,0x09,0x02,0x22]

v_cvt_scale_pk8_f16_fp8 v[10:13], v[20:21], v8
// GFX1250: v_cvt_scale_pk8_f16_fp8 v[10:13], v[20:21], v8 ; encoding: [0x0a,0x00,0xa8,0xd6,0x14,0x11,0x02,0x02]

v_cvt_scale_pk8_f16_fp8 v[10:13], v[20:21], 0xcf00
// GFX1250: v_cvt_scale_pk8_f16_fp8 v[10:13], v[20:21], 0xcf00 ; encoding: [0x0a,0x00,0xa8,0xd6,0x14,0xff,0x01,0x02,0x00,0xcf,0x00,0x00]

v_cvt_scale_pk8_f16_fp8 v[10:13], v[20:21], v8 scale_sel:5
// GFX1250: v_cvt_scale_pk8_f16_fp8 v[10:13], v[20:21], v8 scale_sel:5 ; encoding: [0x0a,0x28,0xa8,0xd6,0x14,0x11,0x02,0x02]

v_cvt_scale_pk8_bf16_fp8 v[10:13], v[20:21], v8
// GFX1250: v_cvt_scale_pk8_bf16_fp8 v[10:13], v[20:21], v8 ; encoding: [0x0a,0x00,0xa9,0xd6,0x14,0x11,0x02,0x02]

v_cvt_scale_pk8_bf16_fp8 v[10:13], v[20:21], 0xcf00
// GFX1250: v_cvt_scale_pk8_bf16_fp8 v[10:13], v[20:21], 0xcf00 ; encoding: [0x0a,0x00,0xa9,0xd6,0x14,0xff,0x01,0x02,0x00,0xcf,0x00,0x00]

v_cvt_scale_pk8_bf16_fp8 v[10:13], v[20:21], v8 scale_sel:6
// GFX1250: v_cvt_scale_pk8_bf16_fp8 v[10:13], v[20:21], v8 scale_sel:6 ; encoding: [0x0a,0x30,0xa9,0xd6,0x14,0x11,0x02,0x02]

v_cvt_scale_pk8_f16_bf8 v[10:13], v[20:21], v8
// GFX1250: v_cvt_scale_pk8_f16_bf8 v[10:13], v[20:21], v8 ; encoding: [0x0a,0x00,0xab,0xd6,0x14,0x11,0x02,0x02]

v_cvt_scale_pk8_f16_bf8 v[10:13], v[20:21], 0xcf00
// GFX1250: v_cvt_scale_pk8_f16_bf8 v[10:13], v[20:21], 0xcf00 ; encoding: [0x0a,0x00,0xab,0xd6,0x14,0xff,0x01,0x02,0x00,0xcf,0x00,0x00]

v_cvt_scale_pk8_f16_bf8 v[10:13], v[20:21], v8 scale_sel:7
// GFX1250: v_cvt_scale_pk8_f16_bf8 v[10:13], v[20:21], v8 scale_sel:7 ; encoding: [0x0a,0x38,0xab,0xd6,0x14,0x11,0x02,0x02]

v_cvt_scale_pk8_f16_bf8 v[10:13], v[20:21], v8 scale_sel:8
// GFX1250: v_cvt_scale_pk8_f16_bf8 v[10:13], v[20:21], v8 scale_sel:8 ; encoding: [0x0a,0x40,0xab,0xd6,0x14,0x11,0x02,0x02]

v_cvt_scale_pk8_bf16_bf8 v[10:13], v[20:21], v8
// GFX1250: v_cvt_scale_pk8_bf16_bf8 v[10:13], v[20:21], v8 ; encoding: [0x0a,0x00,0xac,0xd6,0x14,0x11,0x02,0x02]

v_cvt_scale_pk8_bf16_bf8 v[10:13], v[20:21], 0xcf00
// GFX1250: v_cvt_scale_pk8_bf16_bf8 v[10:13], v[20:21], 0xcf00 ; encoding: [0x0a,0x00,0xac,0xd6,0x14,0xff,0x01,0x02,0x00,0xcf,0x00,0x00]

v_cvt_scale_pk8_bf16_bf8 v[10:13], v[20:21], v8 scale_sel:1
// GFX1250: v_cvt_scale_pk8_bf16_bf8 v[10:13], v[20:21], v8 scale_sel:1 ; encoding: [0x0a,0x08,0xac,0xd6,0x14,0x11,0x02,0x02]

v_cvt_scale_pk8_bf16_fp4 v[10:13], v20, v8
// GFX1250: v_cvt_scale_pk8_bf16_fp4 v[10:13], v20, v8 ; encoding: [0x0a,0x00,0xa0,0xd6,0x14,0x11,0x02,0x02]

v_cvt_scale_pk8_bf16_fp4 v[10:13], v20, 0xcf00
// GFX1250: v_cvt_scale_pk8_bf16_fp4 v[10:13], v20, 0xcf00 ; encoding: [0x0a,0x00,0xa0,0xd6,0x14,0xff,0x01,0x02,0x00,0xcf,0x00,0x00]

v_cvt_scale_pk8_bf16_fp4 v[10:13], v20, v8 scale_sel:2
// GFX1250: v_cvt_scale_pk8_bf16_fp4 v[10:13], v20, v8 scale_sel:2 ; encoding: [0x0a,0x10,0xa0,0xd6,0x14,0x11,0x02,0x02]

v_cvt_scale_pk8_f16_fp4 v[10:13], v20, v8
// GFX1250: v_cvt_scale_pk8_f16_fp4 v[10:13], v20, v8 ; encoding: [0x0a,0x00,0x9f,0xd6,0x14,0x11,0x02,0x02]

v_cvt_scale_pk8_f16_fp4 v[10:13], v20, 0xcf00
// GFX1250: v_cvt_scale_pk8_f16_fp4 v[10:13], v20, 0xcf00 ; encoding: [0x0a,0x00,0x9f,0xd6,0x14,0xff,0x01,0x02,0x00,0xcf,0x00,0x00]

v_cvt_scale_pk8_f16_fp4 v[10:13], v20, v8 scale_sel:3
// GFX1250: v_cvt_scale_pk8_f16_fp4 v[10:13], v20, v8 scale_sel:3 ; encoding: [0x0a,0x18,0x9f,0xd6,0x14,0x11,0x02,0x02]

v_cvt_scale_pk8_f32_fp8 v[10:17], v[20:21], v8
// GFX1250: v_cvt_scale_pk8_f32_fp8 v[10:17], v[20:21], v8 ; encoding: [0x0a,0x00,0xaa,0xd6,0x14,0x11,0x02,0x02]

v_cvt_scale_pk8_f32_fp8 v[10:17], v[20:21], 0xcf00
// GFX1250: v_cvt_scale_pk8_f32_fp8 v[10:17], v[20:21], 0xcf00 ; encoding: [0x0a,0x00,0xaa,0xd6,0x14,0xff,0x01,0x02,0x00,0xcf,0x00,0x00]

v_cvt_scale_pk8_f32_fp8 v[10:17], v[20:21], v8 scale_sel:6
// GFX1250: v_cvt_scale_pk8_f32_fp8 v[10:17], v[20:21], v8 scale_sel:6 ; encoding: [0x0a,0x30,0xaa,0xd6,0x14,0x11,0x02,0x02]

v_cvt_scale_pk8_f32_bf8 v[10:17], v[20:21], v8
// GFX1250: v_cvt_scale_pk8_f32_bf8 v[10:17], v[20:21], v8 ; encoding: [0x0a,0x00,0xad,0xd6,0x14,0x11,0x02,0x02]

v_cvt_scale_pk8_f32_bf8 v[10:17], v[20:21], 0xcf00
// GFX1250: v_cvt_scale_pk8_f32_bf8 v[10:17], v[20:21], 0xcf00 ; encoding: [0x0a,0x00,0xad,0xd6,0x14,0xff,0x01,0x02,0x00,0xcf,0x00,0x00]

v_cvt_scale_pk8_f32_bf8 v[10:17], v[20:21], v8 scale_sel:7
// GFX1250: v_cvt_scale_pk8_f32_bf8 v[10:17], v[20:21], v8 scale_sel:7 ; encoding: [0x0a,0x38,0xad,0xd6,0x14,0x11,0x02,0x02]

v_cvt_scale_pk8_f32_bf8 v[10:17], v[20:21], v8 scale_sel:8
// GFX1250: v_cvt_scale_pk8_f32_bf8 v[10:17], v[20:21], v8 scale_sel:8 ; encoding: [0x0a,0x40,0xad,0xd6,0x14,0x11,0x02,0x02]

v_cvt_scale_pk8_f32_fp4 v[10:17], v20, v8
// GFX1250: v_cvt_scale_pk8_f32_fp4 v[10:17], v20, v8 ; encoding: [0x0a,0x00,0xa1,0xd6,0x14,0x11,0x02,0x02]

v_cvt_scale_pk8_f32_fp4 v[10:17], v20, 0xcf00
// GFX1250: v_cvt_scale_pk8_f32_fp4 v[10:17], v20, 0xcf00 ; encoding: [0x0a,0x00,0xa1,0xd6,0x14,0xff,0x01,0x02,0x00,0xcf,0x00,0x00]

v_cvt_scale_pk8_f32_fp4 v[10:17], v20, v8 scale_sel:1
// GFX1250: v_cvt_scale_pk8_f32_fp4 v[10:17], v20, v8 scale_sel:1 ; encoding: [0x0a,0x08,0xa1,0xd6,0x14,0x11,0x02,0x02]

v_permlane_bcast_b32 v5, v1, s2, s3
// GFX1250: v_permlane_bcast_b32 v5, v1, s2, s3     ; encoding: [0x05,0x00,0x70,0xd6,0x01,0x05,0x0c,0x00]

v_permlane_bcast_b32 v5, v1, s105, s105
// GFX1250: v_permlane_bcast_b32 v5, v1, s105, s105 ; encoding: [0x05,0x00,0x70,0xd6,0x01,0xd3,0xa4,0x01]

v_permlane_bcast_b32 v5, v1, ttmp15, ttmp15
// GFX1250: v_permlane_bcast_b32 v5, v1, ttmp15, ttmp15 ; encoding: [0x05,0x00,0x70,0xd6,0x01,0xf7,0xec,0x01]

v_permlane_bcast_b32 v5, v1, vcc_hi, exec_lo
// GFX1250: v_permlane_bcast_b32 v5, v1, vcc_hi, exec_lo ; encoding: [0x05,0x00,0x70,0xd6,0x01,0xd7,0xf8,0x01]

v_permlane_bcast_b32 v5, v1, vcc_lo, m0
// GFX1250: v_permlane_bcast_b32 v5, v1, vcc_lo, m0 ; encoding: [0x05,0x00,0x70,0xd6,0x01,0xd5,0xf4,0x01]

v_permlane_bcast_b32 v5, v1, m0, vcc_hi
// GFX1250: v_permlane_bcast_b32 v5, v1, m0, vcc_hi ; encoding: [0x05,0x00,0x70,0xd6,0x01,0xfb,0xac,0x01]

v_permlane_bcast_b32 v5, v1, exec_hi, vcc_lo
// GFX1250: v_permlane_bcast_b32 v5, v1, exec_hi, vcc_lo ; encoding: [0x05,0x00,0x70,0xd6,0x01,0xff,0xa8,0x01]

v_permlane_bcast_b32 v5, v1, exec_lo, src_scc
// GFX1250: v_permlane_bcast_b32 v5, v1, exec_lo, src_scc ; encoding: [0x05,0x00,0x70,0xd6,0x01,0xfd,0xf4,0x03]

v_permlane_down_b32 v5, v1, s2, s3
// GFX1250: v_permlane_down_b32 v5, v1, s2, s3      ; encoding: [0x05,0x00,0x72,0xd6,0x01,0x05,0x0c,0x00]

v_permlane_down_b32 v5, v1, s105, s105
// GFX1250: v_permlane_down_b32 v5, v1, s105, s105  ; encoding: [0x05,0x00,0x72,0xd6,0x01,0xd3,0xa4,0x01]

v_permlane_down_b32 v5, v1, ttmp15, ttmp15
// GFX1250: v_permlane_down_b32 v5, v1, ttmp15, ttmp15 ; encoding: [0x05,0x00,0x72,0xd6,0x01,0xf7,0xec,0x01]

v_permlane_down_b32 v5, v1, vcc_hi, exec_lo
// GFX1250: v_permlane_down_b32 v5, v1, vcc_hi, exec_lo ; encoding: [0x05,0x00,0x72,0xd6,0x01,0xd7,0xf8,0x01]

v_permlane_down_b32 v5, v1, vcc_lo, m0
// GFX1250: v_permlane_down_b32 v5, v1, vcc_lo, m0  ; encoding: [0x05,0x00,0x72,0xd6,0x01,0xd5,0xf4,0x01]

v_permlane_down_b32 v5, v1, m0, vcc_hi
// GFX1250: v_permlane_down_b32 v5, v1, m0, vcc_hi  ; encoding: [0x05,0x00,0x72,0xd6,0x01,0xfb,0xac,0x01]

v_permlane_down_b32 v5, v1, exec_hi, vcc_lo
// GFX1250: v_permlane_down_b32 v5, v1, exec_hi, vcc_lo ; encoding: [0x05,0x00,0x72,0xd6,0x01,0xff,0xa8,0x01]

v_permlane_down_b32 v5, v1, exec_lo, src_scc
// GFX1250: v_permlane_down_b32 v5, v1, exec_lo, src_scc ; encoding: [0x05,0x00,0x72,0xd6,0x01,0xfd,0xf4,0x03]

v_permlane_up_b32 v5, v1, s2, s3
// GFX1250: v_permlane_up_b32 v5, v1, s2, s3        ; encoding: [0x05,0x00,0x71,0xd6,0x01,0x05,0x0c,0x00]

v_permlane_up_b32 v5, v1, s105, s105
// GFX1250: v_permlane_up_b32 v5, v1, s105, s105    ; encoding: [0x05,0x00,0x71,0xd6,0x01,0xd3,0xa4,0x01]

v_permlane_up_b32 v5, v1, ttmp15, ttmp15
// GFX1250: v_permlane_up_b32 v5, v1, ttmp15, ttmp15 ; encoding: [0x05,0x00,0x71,0xd6,0x01,0xf7,0xec,0x01]

v_permlane_up_b32 v5, v1, vcc_hi, exec_lo
// GFX1250: v_permlane_up_b32 v5, v1, vcc_hi, exec_lo ; encoding: [0x05,0x00,0x71,0xd6,0x01,0xd7,0xf8,0x01]

v_permlane_up_b32 v5, v1, vcc_lo, m0
// GFX1250: v_permlane_up_b32 v5, v1, vcc_lo, m0    ; encoding: [0x05,0x00,0x71,0xd6,0x01,0xd5,0xf4,0x01]

v_permlane_up_b32 v5, v1, m0, vcc_hi
// GFX1250: v_permlane_up_b32 v5, v1, m0, vcc_hi    ; encoding: [0x05,0x00,0x71,0xd6,0x01,0xfb,0xac,0x01]

v_permlane_up_b32 v5, v1, exec_hi, vcc_lo
// GFX1250: v_permlane_up_b32 v5, v1, exec_hi, vcc_lo ; encoding: [0x05,0x00,0x71,0xd6,0x01,0xff,0xa8,0x01]

v_permlane_up_b32 v5, v1, exec_lo, src_scc
// GFX1250: v_permlane_up_b32 v5, v1, exec_lo, src_scc ; encoding: [0x05,0x00,0x71,0xd6,0x01,0xfd,0xf4,0x03]

v_permlane_xor_b32 v5, v1, s2, s3
// GFX1250: v_permlane_xor_b32 v5, v1, s2, s3       ; encoding: [0x05,0x00,0x73,0xd6,0x01,0x05,0x0c,0x00]

v_permlane_xor_b32 v5, v1, s105, s105
// GFX1250: v_permlane_xor_b32 v5, v1, s105, s105   ; encoding: [0x05,0x00,0x73,0xd6,0x01,0xd3,0xa4,0x01]

v_permlane_xor_b32 v5, v1, ttmp15, ttmp15
// GFX1250: v_permlane_xor_b32 v5, v1, ttmp15, ttmp15 ; encoding: [0x05,0x00,0x73,0xd6,0x01,0xf7,0xec,0x01]

v_permlane_xor_b32 v5, v1, vcc_hi, exec_lo
// GFX1250: v_permlane_xor_b32 v5, v1, vcc_hi, exec_lo ; encoding: [0x05,0x00,0x73,0xd6,0x01,0xd7,0xf8,0x01]

v_permlane_xor_b32 v5, v1, vcc_lo, m0
// GFX1250: v_permlane_xor_b32 v5, v1, vcc_lo, m0   ; encoding: [0x05,0x00,0x73,0xd6,0x01,0xd5,0xf4,0x01]

v_permlane_xor_b32 v5, v1, m0, vcc_hi
// GFX1250: v_permlane_xor_b32 v5, v1, m0, vcc_hi   ; encoding: [0x05,0x00,0x73,0xd6,0x01,0xfb,0xac,0x01]

v_permlane_xor_b32 v5, v1, exec_hi, vcc_lo
// GFX1250: v_permlane_xor_b32 v5, v1, exec_hi, vcc_lo ; encoding: [0x05,0x00,0x73,0xd6,0x01,0xff,0xa8,0x01]

v_permlane_xor_b32 v5, v1, exec_lo, src_scc
// GFX1250: v_permlane_xor_b32 v5, v1, exec_lo, src_scc ; encoding: [0x05,0x00,0x73,0xd6,0x01,0xfd,0xf4,0x03]

v_permlane_idx_gen_b32 v5, v1, s2
// GFX1250: v_permlane_idx_gen_b32 v5, v1, s2       ; encoding: [0x05,0x00,0x14,0xd7,0x01,0x05,0x00,0x02]

v_permlane_idx_gen_b32 v5, v1, s105
// GFX1250: v_permlane_idx_gen_b32 v5, v1, s105     ; encoding: [0x05,0x00,0x14,0xd7,0x01,0xd3,0x00,0x02]

v_permlane_idx_gen_b32 v5, v1, ttmp15
// GFX1250: v_permlane_idx_gen_b32 v5, v1, ttmp15   ; encoding: [0x05,0x00,0x14,0xd7,0x01,0xf7,0x00,0x02]

v_permlane_idx_gen_b32 v5, v1, vcc_hi
// GFX1250: v_permlane_idx_gen_b32 v5, v1, vcc_hi   ; encoding: [0x05,0x00,0x14,0xd7,0x01,0xd7,0x00,0x02]

v_permlane_idx_gen_b32 v5, v1, vcc_lo
// GFX1250: v_permlane_idx_gen_b32 v5, v1, vcc_lo   ; encoding: [0x05,0x00,0x14,0xd7,0x01,0xd5,0x00,0x02]

v_permlane_idx_gen_b32 v5, v1, m0
// GFX1250: v_permlane_idx_gen_b32 v5, v1, m0       ; encoding: [0x05,0x00,0x14,0xd7,0x01,0xfb,0x00,0x02]

v_permlane_idx_gen_b32 v5, v1, exec_hi
// GFX1250: v_permlane_idx_gen_b32 v5, v1, exec_hi  ; encoding: [0x05,0x00,0x14,0xd7,0x01,0xff,0x00,0x02]

v_permlane_idx_gen_b32 v5, v1, exec_lo
// GFX1250: v_permlane_idx_gen_b32 v5, v1, exec_lo  ; encoding: [0x05,0x00,0x14,0xd7,0x01,0xfd,0x00,0x02]

v_cvt_scalef32_pk8_fp8_bf16 v[10:11], v[20:23], v8
// GFX1250: v_cvt_scalef32_pk8_fp8_bf16 v[10:11], v[20:23], v8 ; encoding: [0x0a,0x00,0xb4,0xd6,0x14,0x11,0x02,0x02]

v_cvt_scalef32_pk8_fp8_bf16 v[10:11], v[20:23], 100.0
// GFX1250: v_cvt_scalef32_pk8_fp8_bf16 v[10:11], v[20:23], 0x42c80000 ; encoding: [0x0a,0x00,0xb4,0xd6,0x14,0xff,0x01,0x02,0x00,0x00,0xc8,0x42]

v_cvt_scalef32_pk8_bf8_bf16 v[10:11], v[20:23], v8
// GFX1250: v_cvt_scalef32_pk8_bf8_bf16 v[10:11], v[20:23], v8 ; encoding: [0x0a,0x00,0xb5,0xd6,0x14,0x11,0x02,0x02]

v_cvt_scalef32_pk8_bf8_bf16 v[10:11], v[20:23], 100.0
// GFX1250: v_cvt_scalef32_pk8_bf8_bf16 v[10:11], v[20:23], 0x42c80000 ; encoding: [0x0a,0x00,0xb5,0xd6,0x14,0xff,0x01,0x02,0x00,0x00,0xc8,0x42]

v_cvt_scalef32_pk8_fp8_f16 v[10:11], v[20:23], v8
// GFX1250: v_cvt_scalef32_pk8_fp8_f16 v[10:11], v[20:23], v8 ; encoding: [0x0a,0x00,0xc4,0xd6,0x14,0x11,0x02,0x02]

v_cvt_scalef32_pk8_fp8_f16 v[10:11], v[20:23], 100.0
// GFX1250: v_cvt_scalef32_pk8_fp8_f16 v[10:11], v[20:23], 0x42c80000 ; encoding: [0x0a,0x00,0xc4,0xd6,0x14,0xff,0x01,0x02,0x00,0x00,0xc8,0x42]

v_cvt_scalef32_pk8_bf8_f16 v[10:11], v[20:23], v8
// GFX1250: v_cvt_scalef32_pk8_bf8_f16 v[10:11], v[20:23], v8 ; encoding: [0x0a,0x00,0xc6,0xd6,0x14,0x11,0x02,0x02]

v_cvt_scalef32_pk8_bf8_f16 v[10:11], v[20:23], 100.0
// GFX1250: v_cvt_scalef32_pk8_bf8_f16 v[10:11], v[20:23], 0x42c80000 ; encoding: [0x0a,0x00,0xc6,0xd6,0x14,0xff,0x01,0x02,0x00,0x00,0xc8,0x42]

v_cvt_scalef32_pk8_fp8_f32 v[10:11], v[20:27], v8
// GFX1250: v_cvt_scalef32_pk8_fp8_f32 v[10:11], v[20:27], v8 ; encoding: [0x0a,0x00,0xc3,0xd6,0x14,0x11,0x02,0x02]

v_cvt_scalef32_pk8_fp8_f32 v[10:11], v[20:27], 100.0
// GFX1250: v_cvt_scalef32_pk8_fp8_f32 v[10:11], v[20:27], 0x42c80000 ; encoding: [0x0a,0x00,0xc3,0xd6,0x14,0xff,0x01,0x02,0x00,0x00,0xc8,0x42]

v_cvt_scalef32_pk8_bf8_f32 v[10:11], v[20:27], v8
// GFX1250: v_cvt_scalef32_pk8_bf8_f32 v[10:11], v[20:27], v8 ; encoding: [0x0a,0x00,0xc5,0xd6,0x14,0x11,0x02,0x02]

v_cvt_scalef32_pk8_bf8_f32 v[10:11], v[20:27], 100.0
// GFX1250: v_cvt_scalef32_pk8_bf8_f32 v[10:11], v[20:27], 0x42c80000 ; encoding: [0x0a,0x00,0xc5,0xd6,0x14,0xff,0x01,0x02,0x00,0x00,0xc8,0x42]

v_cvt_scalef32_pk8_fp4_f32 v10, v[20:27], v8
// GFX1250: v_cvt_scalef32_pk8_fp4_f32 v10, v[20:27], v8 ; encoding: [0x0a,0x00,0xb0,0xd6,0x14,0x11,0x02,0x02]

v_cvt_scalef32_pk8_fp4_f32 v10, v[20:27], 100.0
// GFX1250: v_cvt_scalef32_pk8_fp4_f32 v10, v[20:27], 0x42c80000 ; encoding: [0x0a,0x00,0xb0,0xd6,0x14,0xff,0x01,0x02,0x00,0x00,0xc8,0x42]

v_cvt_scalef32_pk8_fp4_f16 v10, v[20:23], v8
// GFX1250: v_cvt_scalef32_pk8_fp4_f16 v10, v[20:23], v8 ; encoding: [0x0a,0x00,0xb3,0xd6,0x14,0x11,0x02,0x02]

v_cvt_scalef32_pk8_fp4_f16 v10, v[20:23], 100.0
// GFX1250: v_cvt_scalef32_pk8_fp4_f16 v10, v[20:23], 0x42c80000 ; encoding: [0x0a,0x00,0xb3,0xd6,0x14,0xff,0x01,0x02,0x00,0x00,0xc8,0x42]

v_cvt_scalef32_pk8_fp4_bf16 v10, v[20:23], v8
// GFX1250: v_cvt_scalef32_pk8_fp4_bf16 v10, v[20:23], v8 ; encoding: [0x0a,0x00,0xb8,0xd6,0x14,0x11,0x02,0x02]

v_cvt_scalef32_pk8_fp4_bf16 v10, v[20:23], 100.0
// GFX1250: v_cvt_scalef32_pk8_fp4_bf16 v10, v[20:23], 0x42c80000 ; encoding: [0x0a,0x00,0xb8,0xd6,0x14,0xff,0x01,0x02,0x00,0x00,0xc8,0x42]

v_cvt_scalef32_sr_pk8_fp8_bf16 v[10:11], v[20:23], v4, v8
// GFX1250: v_cvt_scalef32_sr_pk8_fp8_bf16 v[10:11], v[20:23], v4, v8 ; encoding: [0x0a,0x00,0xc0,0xd6,0x14,0x09,0x22,0x04]

v_cvt_scalef32_sr_pk8_fp8_bf16 v[10:11], v[20:23], s4, 100.0
// GFX1250: v_cvt_scalef32_sr_pk8_fp8_bf16 v[10:11], v[20:23], s4, 0x42c80000 ; encoding: [0x0a,0x00,0xc0,0xd6,0x14,0x09,0xfc,0x03,0x00,0x00,0xc8,0x42]

v_cvt_scalef32_sr_pk8_bf8_bf16 v[10:11], v[20:23], v4, v8
// GFX1250: v_cvt_scalef32_sr_pk8_bf8_bf16 v[10:11], v[20:23], v4, v8 ; encoding: [0x0a,0x00,0xc2,0xd6,0x14,0x09,0x22,0x04]

v_cvt_scalef32_sr_pk8_bf8_bf16 v[10:11], v[20:23], s4, 100.0
// GFX1250: v_cvt_scalef32_sr_pk8_bf8_bf16 v[10:11], v[20:23], s4, 0x42c80000 ; encoding: [0x0a,0x00,0xc2,0xd6,0x14,0x09,0xfc,0x03,0x00,0x00,0xc8,0x42]

v_cvt_scalef32_sr_pk8_fp8_f16 v[10:11], v[20:23], v4, v8
// GFX1250: v_cvt_scalef32_sr_pk8_fp8_f16 v[10:11], v[20:23], v4, v8 ; encoding: [0x0a,0x00,0xbf,0xd6,0x14,0x09,0x22,0x04]

v_cvt_scalef32_sr_pk8_fp8_f16 v[10:11], v[20:23], s4, 100.0
// GFX1250: v_cvt_scalef32_sr_pk8_fp8_f16 v[10:11], v[20:23], s4, 0x42c80000 ; encoding: [0x0a,0x00,0xbf,0xd6,0x14,0x09,0xfc,0x03,0x00,0x00,0xc8,0x42]

v_cvt_scalef32_sr_pk8_bf8_f16 v[10:11], v[20:23], v4, v8
// GFX1250: v_cvt_scalef32_sr_pk8_bf8_f16 v[10:11], v[20:23], v4, v8 ; encoding: [0x0a,0x00,0xc1,0xd6,0x14,0x09,0x22,0x04]

v_cvt_scalef32_sr_pk8_bf8_f16 v[10:11], v[20:23], s4, 100.0
// GFX1250: v_cvt_scalef32_sr_pk8_bf8_f16 v[10:11], v[20:23], s4, 0x42c80000 ; encoding: [0x0a,0x00,0xc1,0xd6,0x14,0x09,0xfc,0x03,0x00,0x00,0xc8,0x42]

v_cvt_scalef32_sr_pk8_fp8_f32 v[10:11], v[20:27], v4, v8
// GFX1250: v_cvt_scalef32_sr_pk8_fp8_f32 v[10:11], v[20:27], v4, v8 ; encoding: [0x0a,0x00,0x98,0xd6,0x14,0x09,0x22,0x04]

v_cvt_scalef32_sr_pk8_fp8_f32 v[10:11], v[20:27], s4, 100.0
// GFX1250: v_cvt_scalef32_sr_pk8_fp8_f32 v[10:11], v[20:27], s4, 0x42c80000 ; encoding: [0x0a,0x00,0x98,0xd6,0x14,0x09,0xfc,0x03,0x00,0x00,0xc8,0x42]

v_cvt_scalef32_sr_pk8_bf8_f32 v[10:11], v[20:27], v4, v8
// GFX1250: v_cvt_scalef32_sr_pk8_bf8_f32 v[10:11], v[20:27], v4, v8 ; encoding: [0x0a,0x00,0x99,0xd6,0x14,0x09,0x22,0x04]

v_cvt_scalef32_sr_pk8_bf8_f32 v[10:11], v[20:27], s4, 100.0
// GFX1250: v_cvt_scalef32_sr_pk8_bf8_f32 v[10:11], v[20:27], s4, 0x42c80000 ; encoding: [0x0a,0x00,0x99,0xd6,0x14,0x09,0xfc,0x03,0x00,0x00,0xc8,0x42]

v_cvt_scalef32_sr_pk8_fp4_f32 v10, v[20:27], v4, v8
// GFX1250: v_cvt_scalef32_sr_pk8_fp4_f32 v10, v[20:27], v4, v8 ; encoding: [0x0a,0x00,0x97,0xd6,0x14,0x09,0x22,0x04]

v_cvt_scalef32_sr_pk8_fp4_f32 v10, v[20:27], s4, 100.0
// GFX1250: v_cvt_scalef32_sr_pk8_fp4_f32 v10, v[20:27], s4, 0x42c80000 ; encoding: [0x0a,0x00,0x97,0xd6,0x14,0x09,0xfc,0x03,0x00,0x00,0xc8,0x42]

v_cvt_scalef32_sr_pk8_fp4_f16 v10, v[20:23], v4, v8
// GFX1250: v_cvt_scalef32_sr_pk8_fp4_f16 v10, v[20:23], v4, v8 ; encoding: [0x0a,0x00,0xb9,0xd6,0x14,0x09,0x22,0x04]

v_cvt_scalef32_sr_pk8_fp4_f16 v10, v[20:23], s4, 100.0
// GFX1250: v_cvt_scalef32_sr_pk8_fp4_f16 v10, v[20:23], s4, 0x42c80000 ; encoding: [0x0a,0x00,0xb9,0xd6,0x14,0x09,0xfc,0x03,0x00,0x00,0xc8,0x42]

v_cvt_scalef32_sr_pk8_fp4_bf16 v10, v[20:23], v4, v8
// GFX1250: v_cvt_scalef32_sr_pk8_fp4_bf16 v10, v[20:23], v4, v8 ; encoding: [0x0a,0x00,0xbc,0xd6,0x14,0x09,0x22,0x04]

v_cvt_scalef32_sr_pk8_fp4_bf16 v10, v[20:23], s4, 100.0
// GFX1250: v_cvt_scalef32_sr_pk8_fp4_bf16 v10, v[20:23], s4, 0x42c80000 ; encoding: [0x0a,0x00,0xbc,0xd6,0x14,0x09,0xfc,0x03,0x00,0x00,0xc8,0x42]

v_perm_pk16_b4_u4 v[2:3], v4, v5, v[6:7]
// GFX1250: v_perm_pk16_b4_u4 v[2:3], v4, v5, v[6:7] ; encoding: [0x02,0x00,0x3f,0xd6,0x04,0x0b,0x1a,0x04]

v_perm_pk16_b4_u4 v[2:3], v4, ttmp5, s[6:7]
// GFX1250: v_perm_pk16_b4_u4 v[2:3], v4, ttmp5, s[6:7] ; encoding: [0x02,0x00,0x3f,0xd6,0x04,0xe3,0x18,0x00]

v_perm_pk16_b4_u4 v[2:3], s4, v5, v[6:7]
// GFX1250: v_perm_pk16_b4_u4 v[2:3], s4, v5, v[6:7] ; encoding: [0x02,0x00,0x3f,0xd6,0x04,0x0a,0x1a,0x04]

v_perm_pk16_b4_u4 v[2:3], v4, v5, 100
// GFX1250: v_perm_pk16_b4_u4 v[2:3], v4, v5, 0x64  ; encoding: [0x02,0x00,0x3f,0xd6,0x04,0x0b,0xfe,0x03,0x64,0x00,0x00,0x00]

v_perm_pk16_b4_u4 v[2:3], v4, v5, 4
// GFX1250: v_perm_pk16_b4_u4 v[2:3], v4, v5, 4     ; encoding: [0x02,0x00,0x3f,0xd6,0x04,0x0b,0x12,0x02]

v_perm_pk16_b6_u4 v[2:4], v4, v[8:9], v[6:7]
// GFX1250: v_perm_pk16_b6_u4 v[2:4], v4, v[8:9], v[6:7] ; encoding: [0x02,0x00,0x42,0xd6,0x04,0x11,0x1a,0x04]

v_perm_pk16_b6_u4 v[2:4], v4, ttmp[4:5], s[6:7]
// GFX1250: v_perm_pk16_b6_u4 v[2:4], v4, ttmp[4:5], s[6:7] ; encoding: [0x02,0x00,0x42,0xd6,0x04,0xe1,0x18,0x00]

v_perm_pk16_b6_u4 v[2:4], s4, v[4:5], v[6:7]
// GFX1250: v_perm_pk16_b6_u4 v[2:4], s4, v[4:5], v[6:7] ; encoding: [0x02,0x00,0x42,0xd6,0x04,0x08,0x1a,0x04]

v_perm_pk16_b6_u4 v[2:4], v4, v[4:5], 100
// GFX1250: v_perm_pk16_b6_u4 v[2:4], v4, v[4:5], 0x64 ; encoding: [0x02,0x00,0x42,0xd6,0x04,0x09,0xfe,0x03,0x64,0x00,0x00,0x00]

v_perm_pk16_b6_u4 v[2:4], v4, v[4:5], 4
// GFX1250: v_perm_pk16_b6_u4 v[2:4], v4, v[4:5], 4 ; encoding: [0x02,0x00,0x42,0xd6,0x04,0x09,0x12,0x02]

v_perm_pk16_b8_u4 v[2:5], v[4:5], v[8:9], v[6:7]
// GFX1250: v_perm_pk16_b8_u4 v[2:5], v[4:5], v[8:9], v[6:7] ; encoding: [0x02,0x00,0x43,0xd6,0x04,0x11,0x1a,0x04]

v_perm_pk16_b8_u4 v[2:5], v[4:5], ttmp[4:5], s[6:7]
// GFX1250: v_perm_pk16_b8_u4 v[2:5], v[4:5], ttmp[4:5], s[6:7] ; encoding: [0x02,0x00,0x43,0xd6,0x04,0xe1,0x18,0x00]

v_perm_pk16_b8_u4 v[2:5], s[4:5], v[4:5], v[6:7]
// GFX1250: v_perm_pk16_b8_u4 v[2:5], s[4:5], v[4:5], v[6:7] ; encoding: [0x02,0x00,0x43,0xd6,0x04,0x08,0x1a,0x04]

v_perm_pk16_b8_u4 v[2:5], v[4:5], v[4:5], 100
// GFX1250: v_perm_pk16_b8_u4 v[2:5], v[4:5], v[4:5], 0x64 ; encoding: [0x02,0x00,0x43,0xd6,0x04,0x09,0xfe,0x03,0x64,0x00,0x00,0x00]

v_perm_pk16_b8_u4 v[2:5], v[4:5], v[4:5], 4
// GFX1250: v_perm_pk16_b8_u4 v[2:5], v[4:5], v[4:5], 4 ; encoding: [0x02,0x00,0x43,0xd6,0x04,0x09,0x12,0x02]

v_cvt_scale_pk16_bf16_bf6 v[10:17], v[20:22], v8
// GFX1250: v_cvt_scale_pk16_bf16_bf6 v[10:17], v[20:22], v8 ; encoding: [0x0a,0x00,0xcb,0xd6,0x14,0x11,0x02,0x02]

v_cvt_scale_pk16_bf16_bf6 v[10:17], v[20:22], 0xcf00
// GFX1250: v_cvt_scale_pk16_bf16_bf6 v[10:17], v[20:22], 0xcf00 ; encoding: [0x0a,0x00,0xcb,0xd6,0x14,0xff,0x01,0x02,0x00,0xcf,0x00,0x00]

v_cvt_scale_pk16_bf16_bf6 v[10:17], v[20:22], v8 scale_sel:1
// GFX1250: v_cvt_scale_pk16_bf16_bf6 v[10:17], v[20:22], v8 scale_sel:1 ; encoding: [0x0a,0x08,0xcb,0xd6,0x14,0x11,0x02,0x02]

v_cvt_scale_pk16_f16_bf6 v[10:17], v[20:22], v8
// GFX1250: v_cvt_scale_pk16_f16_bf6 v[10:17], v[20:22], v8 ; encoding: [0x0a,0x00,0xca,0xd6,0x14,0x11,0x02,0x02]

v_cvt_scale_pk16_f16_bf6 v[10:17], v[20:22], 0xcf00
// GFX1250: v_cvt_scale_pk16_f16_bf6 v[10:17], v[20:22], 0xcf00 ; encoding: [0x0a,0x00,0xca,0xd6,0x14,0xff,0x01,0x02,0x00,0xcf,0x00,0x00]

v_cvt_scale_pk16_f16_bf6 v[10:17], v[20:22], v8 scale_sel:2
// GFX1250: v_cvt_scale_pk16_f16_bf6 v[10:17], v[20:22], v8 scale_sel:2 ; encoding: [0x0a,0x10,0xca,0xd6,0x14,0x11,0x02,0x02]

v_cvt_scale_pk16_bf16_fp6 v[10:17], v[20:22], v8
// GFX1250: v_cvt_scale_pk16_bf16_fp6 v[10:17], v[20:22], v8 ; encoding: [0x0a,0x00,0xc8,0xd6,0x14,0x11,0x02,0x02]

v_cvt_scale_pk16_bf16_fp6 v[10:17], v[20:22], 0xcf00
// GFX1250: v_cvt_scale_pk16_bf16_fp6 v[10:17], v[20:22], 0xcf00 ; encoding: [0x0a,0x00,0xc8,0xd6,0x14,0xff,0x01,0x02,0x00,0xcf,0x00,0x00]

v_cvt_scale_pk16_bf16_fp6 v[10:17], v[20:22], v8 scale_sel:3
// GFX1250: v_cvt_scale_pk16_bf16_fp6 v[10:17], v[20:22], v8 scale_sel:3 ; encoding: [0x0a,0x18,0xc8,0xd6,0x14,0x11,0x02,0x02]

v_cvt_scale_pk16_f16_fp6 v[10:17], v[20:22], v8
// GFX1250: v_cvt_scale_pk16_f16_fp6 v[10:17], v[20:22], v8 ; encoding: [0x0a,0x00,0xc7,0xd6,0x14,0x11,0x02,0x02]

v_cvt_scale_pk16_f16_fp6 v[10:17], v[20:22], 0xcf00
// GFX1250: v_cvt_scale_pk16_f16_fp6 v[10:17], v[20:22], 0xcf00 ; encoding: [0x0a,0x00,0xc7,0xd6,0x14,0xff,0x01,0x02,0x00,0xcf,0x00,0x00]

v_cvt_scale_pk16_f16_fp6 v[10:17], v[20:22], v8 scale_sel:4
// GFX1250: v_cvt_scale_pk16_f16_fp6 v[10:17], v[20:22], v8 scale_sel:4 ; encoding: [0x0a,0x20,0xc7,0xd6,0x14,0x11,0x02,0x02]

v_cvt_scale_pk16_f32_fp6 v[10:25], v[20:22], v8
// GFX1250: v_cvt_scale_pk16_f32_fp6 v[10:25], v[20:22], v8 ; encoding: [0x0a,0x00,0xc9,0xd6,0x14,0x11,0x02,0x02]

v_cvt_scale_pk16_f32_fp6 v[10:25], v[20:22], 0xcf00
// GFX1250: v_cvt_scale_pk16_f32_fp6 v[10:25], v[20:22], 0xcf00 ; encoding: [0x0a,0x00,0xc9,0xd6,0x14,0xff,0x01,0x02,0x00,0xcf,0x00,0x00]

v_cvt_scale_pk16_f32_fp6 v[10:25], v[20:22], v8 scale_sel:4
// GFX1250: v_cvt_scale_pk16_f32_fp6 v[10:25], v[20:22], v8 scale_sel:4 ; encoding: [0x0a,0x20,0xc9,0xd6,0x14,0x11,0x02,0x02]

v_cvt_scale_pk16_f32_bf6 v[10:25], v[20:22], v8
// GFX1250: v_cvt_scale_pk16_f32_bf6 v[10:25], v[20:22], v8 ; encoding: [0x0a,0x00,0xcc,0xd6,0x14,0x11,0x02,0x02]

v_cvt_scale_pk16_f32_bf6 v[10:25], v[20:22], 0xcf00
// GFX1250: v_cvt_scale_pk16_f32_bf6 v[10:25], v[20:22], 0xcf00 ; encoding: [0x0a,0x00,0xcc,0xd6,0x14,0xff,0x01,0x02,0x00,0xcf,0x00,0x00]

v_cvt_scale_pk16_f32_bf6 v[10:25], v[20:22], v8 scale_sel:5
// GFX1250: v_cvt_scale_pk16_f32_bf6 v[10:25], v[20:22], v8 scale_sel:5 ; encoding: [0x0a,0x28,0xcc,0xd6,0x14,0x11,0x02,0x02]

v_cvt_scalef32_pk16_bf6_bf16 v[10:12], v[20:27], 100.0
// GFX1250: v_cvt_scalef32_pk16_bf6_bf16 v[10:12], v[20:27], 0x42c80000 ; encoding: [0x0a,0x00,0xd2,0xd6,0x14,0xff,0x01,0x02,0x00,0x00,0xc8,0x42]

v_cvt_scalef32_pk16_bf6_bf16 v[10:12], v[20:27], v8
// GFX1250: v_cvt_scalef32_pk16_bf6_bf16 v[10:12], v[20:27], v8 ; encoding: [0x0a,0x00,0xd2,0xd6,0x14,0x11,0x02,0x02]

v_cvt_scalef32_pk16_bf6_f16 v[10:12], v[20:27], 100.0
// GFX1250: v_cvt_scalef32_pk16_bf6_f16 v[10:12], v[20:27], 0x42c80000 ; encoding: [0x0a,0x00,0xd0,0xd6,0x14,0xff,0x01,0x02,0x00,0x00,0xc8,0x42]

v_cvt_scalef32_pk16_bf6_f16 v[10:12], v[20:27], v8
// GFX1250: v_cvt_scalef32_pk16_bf6_f16 v[10:12], v[20:27], v8 ; encoding: [0x0a,0x00,0xd0,0xd6,0x14,0x11,0x02,0x02]

v_cvt_scalef32_pk16_bf6_f32 v[10:12], v[20:35], 100.0
// GFX1250: v_cvt_scalef32_pk16_bf6_f32 v[10:12], v[20:35], 0x42c80000 ; encoding: [0x0a,0x00,0xce,0xd6,0x14,0xff,0x01,0x02,0x00,0x00,0xc8,0x42]

v_cvt_scalef32_pk16_bf6_f32 v[10:12], v[20:35], v8
// GFX1250: v_cvt_scalef32_pk16_bf6_f32 v[10:12], v[20:35], v8 ; encoding: [0x0a,0x00,0xce,0xd6,0x14,0x11,0x02,0x02]

v_cvt_scalef32_pk16_fp6_bf16 v[10:12], v[20:27], 100.0
// GFX1250: v_cvt_scalef32_pk16_fp6_bf16 v[10:12], v[20:27], 0x42c80000 ; encoding: [0x0a,0x00,0xd1,0xd6,0x14,0xff,0x01,0x02,0x00,0x00,0xc8,0x42]

v_cvt_scalef32_pk16_fp6_bf16 v[10:12], v[20:27], v8
// GFX1250: v_cvt_scalef32_pk16_fp6_bf16 v[10:12], v[20:27], v8 ; encoding: [0x0a,0x00,0xd1,0xd6,0x14,0x11,0x02,0x02]

v_cvt_scalef32_pk16_fp6_f16 v[10:12], v[20:27], 100.0
// GFX1250: v_cvt_scalef32_pk16_fp6_f16 v[10:12], v[20:27], 0x42c80000 ; encoding: [0x0a,0x00,0xcf,0xd6,0x14,0xff,0x01,0x02,0x00,0x00,0xc8,0x42]

v_cvt_scalef32_pk16_fp6_f16 v[10:12], v[20:27], v8
// GFX1250: v_cvt_scalef32_pk16_fp6_f16 v[10:12], v[20:27], v8 ; encoding: [0x0a,0x00,0xcf,0xd6,0x14,0x11,0x02,0x02]

v_cvt_scalef32_pk16_fp6_f32 v[10:12], v[20:35], 100.0
// GFX1250: v_cvt_scalef32_pk16_fp6_f32 v[10:12], v[20:35], 0x42c80000 ; encoding: [0x0a,0x00,0xcd,0xd6,0x14,0xff,0x01,0x02,0x00,0x00,0xc8,0x42]

v_cvt_scalef32_pk16_fp6_f32 v[10:12], v[20:35], v8
// GFX1250: v_cvt_scalef32_pk16_fp6_f32 v[10:12], v[20:35], v8 ; encoding: [0x0a,0x00,0xcd,0xd6,0x14,0x11,0x02,0x02]

v_cvt_scalef32_sr_pk16_bf6_bf16 v[10:12], v[20:27], v4, v8
// GFX1250: v_cvt_scalef32_sr_pk16_bf6_bf16 v[10:12], v[20:27], v4, v8 ; encoding: [0x0a,0x00,0xd8,0xd6,0x14,0x09,0x22,0x04]

v_cvt_scalef32_sr_pk16_bf6_bf16 v[10:12], v[20:27], s4, 100.0
// GFX1250: v_cvt_scalef32_sr_pk16_bf6_bf16 v[10:12], v[20:27], s4, 0x42c80000 ; encoding: [0x0a,0x00,0xd8,0xd6,0x14,0x09,0xfc,0x03,0x00,0x00,0xc8,0x42]

v_cvt_scalef32_sr_pk16_bf6_f16 v[10:12], v[20:27], v4, v8
// GFX1250: v_cvt_scalef32_sr_pk16_bf6_f16 v[10:12], v[20:27], v4, v8 ; encoding: [0x0a,0x00,0xd6,0xd6,0x14,0x09,0x22,0x04]

v_cvt_scalef32_sr_pk16_bf6_f16 v[10:12], v[20:27], s4, 100.0
// GFX1250: v_cvt_scalef32_sr_pk16_bf6_f16 v[10:12], v[20:27], s4, 0x42c80000 ; encoding: [0x0a,0x00,0xd6,0xd6,0x14,0x09,0xfc,0x03,0x00,0x00,0xc8,0x42]

v_cvt_scalef32_sr_pk16_fp6_bf16 v[10:12], v[20:27], v4, v8
// GFX1250: v_cvt_scalef32_sr_pk16_fp6_bf16 v[10:12], v[20:27], v4, v8 ; encoding: [0x0a,0x00,0xd7,0xd6,0x14,0x09,0x22,0x04]

v_cvt_scalef32_sr_pk16_fp6_bf16 v[10:12], v[20:27], s4, 100.0
// GFX1250: v_cvt_scalef32_sr_pk16_fp6_bf16 v[10:12], v[20:27], s4, 0x42c80000 ; encoding: [0x0a,0x00,0xd7,0xd6,0x14,0x09,0xfc,0x03,0x00,0x00,0xc8,0x42]

v_cvt_scalef32_sr_pk16_fp6_f16 v[10:12], v[20:27], v4, v8
// GFX1250: v_cvt_scalef32_sr_pk16_fp6_f16 v[10:12], v[20:27], v4, v8 ; encoding: [0x0a,0x00,0xd5,0xd6,0x14,0x09,0x22,0x04]

v_cvt_scalef32_sr_pk16_fp6_f16 v[10:12], v[20:27], s4, 100.0
// GFX1250: v_cvt_scalef32_sr_pk16_fp6_f16 v[10:12], v[20:27], s4, 0x42c80000 ; encoding: [0x0a,0x00,0xd5,0xd6,0x14,0x09,0xfc,0x03,0x00,0x00,0xc8,0x42]

v_cvt_scalef32_sr_pk16_bf6_f32 v[10:12], v[20:35], v4, v8
// GFX1250: v_cvt_scalef32_sr_pk16_bf6_f32 v[10:12], v[20:35], v4, v8 ; encoding: [0x0a,0x00,0xd4,0xd6,0x14,0x09,0x22,0x04]

v_cvt_scalef32_sr_pk16_bf6_f32 v[10:12], v[20:35], s4, 100.0
// GFX1250: v_cvt_scalef32_sr_pk16_bf6_f32 v[10:12], v[20:35], s4, 0x42c80000 ; encoding: [0x0a,0x00,0xd4,0xd6,0x14,0x09,0xfc,0x03,0x00,0x00,0xc8,0x42]

v_cvt_scalef32_sr_pk16_fp6_f32 v[10:12], v[20:35], v4, v8
// GFX1250: v_cvt_scalef32_sr_pk16_fp6_f32 v[10:12], v[20:35], v4, v8 ; encoding: [0x0a,0x00,0xd3,0xd6,0x14,0x09,0x22,0x04]

v_cvt_scalef32_sr_pk16_fp6_f32 v[10:12], v[20:35], s4, 100.0
// GFX1250: v_cvt_scalef32_sr_pk16_fp6_f32 v[10:12], v[20:35], s4, 0x42c80000 ; encoding: [0x0a,0x00,0xd3,0xd6,0x14,0x09,0xfc,0x03,0x00,0x00,0xc8,0x42]
